;; amdgpu-corpus repo=ROCm/Tensile kind=harvested arch=n/a opt=n/a

/******************************************/
/* Function Prefix                        */
/******************************************/



/******************************************/
/* Begin Kernel                           */
/******************************************/

// Component.Signature.SignatureDefault
.amdgcn_target "amdgcn-amd-amdhsa--gfx908"
.text
.protected Cijk_Alik_Bljk_I8II_BH_MT128x96x64_MI32x32x8x1_SE_1LDSB0_APM1_AF0EM8_AF1EM1_AMAS0_ASE_ASAE01_ASCE01_ASEM1_BL1_DTLA0_DTLB0_DVO0_EPS0_FL0_GLVWA4_GLVWB4_GRVW4_GSU1_GSUASB_ISA908_IU1_K1_KLA_LBSPPA128_LBSPPB128_LPA16_LPB16_LDL1_LRVW16_LDW0_FMA_MDA2_MMFGLC_NTC0_NTD0_NEPBS0_NLCA1_NLCB1_ONLL1_OPLV0_PK0_PAP0_PGR2_PLR9_SIA3_SS0_SU0_SUM0_SUS0_SPO0_SRVW4_SSO0_SVW4_SNLL0_TT1_96_TLDS1_UMLDSA1_UMLDSB1_USFGROn1_VAW1_VSn1_VW1_VWB1_WSGRA1_WSGRB1_WG128_2_1_WGM1
.globl Cijk_Alik_Bljk_I8II_BH_MT128x96x64_MI32x32x8x1_SE_1LDSB0_APM1_AF0EM8_AF1EM1_AMAS0_ASE_ASAE01_ASCE01_ASEM1_BL1_DTLA0_DTLB0_DVO0_EPS0_FL0_GLVWA4_GLVWB4_GRVW4_GSU1_GSUASB_ISA908_IU1_K1_KLA_LBSPPA128_LBSPPB128_LPA16_LPB16_LDL1_LRVW16_LDW0_FMA_MDA2_MMFGLC_NTC0_NTD0_NEPBS0_NLCA1_NLCB1_ONLL1_OPLV0_PK0_PAP0_PGR2_PLR9_SIA3_SS0_SU0_SUM0_SUS0_SPO0_SRVW4_SSO0_SVW4_SNLL0_TT1_96_TLDS1_UMLDSA1_UMLDSB1_USFGROn1_VAW1_VSn1_VW1_VWB1_WSGRA1_WSGRB1_WG128_2_1_WGM1
.p2align 8
.type Cijk_Alik_Bljk_I8II_BH_MT128x96x64_MI32x32x8x1_SE_1LDSB0_APM1_AF0EM8_AF1EM1_AMAS0_ASE_ASAE01_ASCE01_ASEM1_BL1_DTLA0_DTLB0_DVO0_EPS0_FL0_GLVWA4_GLVWB4_GRVW4_GSU1_GSUASB_ISA908_IU1_K1_KLA_LBSPPA128_LBSPPB128_LPA16_LPB16_LDL1_LRVW16_LDW0_FMA_MDA2_MMFGLC_NTC0_NTD0_NEPBS0_NLCA1_NLCB1_ONLL1_OPLV0_PK0_PAP0_PGR2_PLR9_SIA3_SS0_SU0_SUM0_SUS0_SPO0_SRVW4_SSO0_SVW4_SNLL0_TT1_96_TLDS1_UMLDSA1_UMLDSB1_USFGROn1_VAW1_VSn1_VW1_VWB1_WSGRA1_WSGRB1_WG128_2_1_WGM1,@function
.section .rodata,#alloc
.p2align 6
.amdhsa_kernel Cijk_Alik_Bljk_I8II_BH_MT128x96x64_MI32x32x8x1_SE_1LDSB0_APM1_AF0EM8_AF1EM1_AMAS0_ASE_ASAE01_ASCE01_ASEM1_BL1_DTLA0_DTLB0_DVO0_EPS0_FL0_GLVWA4_GLVWB4_GRVW4_GSU1_GSUASB_ISA908_IU1_K1_KLA_LBSPPA128_LBSPPB128_LPA16_LPB16_LDL1_LRVW16_LDW0_FMA_MDA2_MMFGLC_NTC0_NTD0_NEPBS0_NLCA1_NLCB1_ONLL1_OPLV0_PK0_PAP0_PGR2_PLR9_SIA3_SS0_SU0_SUM0_SUS0_SPO0_SRVW4_SSO0_SVW4_SNLL0_TT1_96_TLDS1_UMLDSA1_UMLDSB1_USFGROn1_VAW1_VSn1_VW1_VWB1_WSGRA1_WSGRB1_WG128_2_1_WGM1
  .amdhsa_user_sgpr_kernarg_segment_ptr 1
  .amdhsa_user_sgpr_count 2
  .amdhsa_next_free_vgpr 128 // vgprs
  .amdhsa_next_free_sgpr 66 // sgprs
  .amdhsa_group_segment_fixed_size 32512 // lds bytes
  .amdhsa_private_segment_fixed_size 0
  .amdhsa_system_sgpr_workgroup_id_x 1
  .amdhsa_system_sgpr_workgroup_id_y 1
  .amdhsa_system_sgpr_workgroup_id_z 1
  .amdhsa_system_vgpr_workitem_id 0
  .amdhsa_float_denorm_mode_32 3
  .amdhsa_float_denorm_mode_16_64 3
.end_amdhsa_kernel
.text

/******************************************/
/* Optimizations and Config:              */
/******************************************/
/* ThreadTile= 16 x 3 */
/* SubGroup= 8 x 32 */
/* VectorWidthA=1 */
/* VectorWidthB=1 */
/* GlobalLoadVectorWidthA=4, GlobalLoadVectorWidthB=4 */
/* DirectToLdsA=False */
/* DirectToLdsB=False */
/* UseSgprForGRO=1 */
.amdgpu_metadata
---
amdhsa.version:
  - 1
  - 1
amdhsa.target: amdgcn-amd-amdhsa--gfx908
amdhsa.kernels:
  - .name: Cijk_Alik_Bljk_I8II_BH_MT128x96x64_MI32x32x8x1_SE_1LDSB0_APM1_AF0EM8_AF1EM1_AMAS0_ASE_ASAE01_ASCE01_ASEM1_BL1_DTLA0_DTLB0_DVO0_EPS0_FL0_GLVWA4_GLVWB4_GRVW4_GSU1_GSUASB_ISA908_IU1_K1_KLA_LBSPPA128_LBSPPB128_LPA16_LPB16_LDL1_LRVW16_LDW0_FMA_MDA2_MMFGLC_NTC0_NTD0_NEPBS0_NLCA1_NLCB1_ONLL1_OPLV0_PK0_PAP0_PGR2_PLR9_SIA3_SS0_SU0_SUM0_SUS0_SPO0_SRVW4_SSO0_SVW4_SNLL0_TT1_96_TLDS1_UMLDSA1_UMLDSB1_USFGROn1_VAW1_VSn1_VW1_VWB1_WSGRA1_WSGRB1_WG128_2_1_WGM1
    .symbol: 'Cijk_Alik_Bljk_I8II_BH_MT128x96x64_MI32x32x8x1_SE_1LDSB0_APM1_AF0EM8_AF1EM1_AMAS0_ASE_ASAE01_ASCE01_ASEM1_BL1_DTLA0_DTLB0_DVO0_EPS0_FL0_GLVWA4_GLVWB4_GRVW4_GSU1_GSUASB_ISA908_IU1_K1_KLA_LBSPPA128_LBSPPB128_LPA16_LPB16_LDL1_LRVW16_LDW0_FMA_MDA2_MMFGLC_NTC0_NTD0_NEPBS0_NLCA1_NLCB1_ONLL1_OPLV0_PK0_PAP0_PGR2_PLR9_SIA3_SS0_SU0_SUM0_SUS0_SPO0_SRVW4_SSO0_SVW4_SNLL0_TT1_96_TLDS1_UMLDSA1_UMLDSB1_USFGROn1_VAW1_VSn1_VW1_VWB1_WSGRA1_WSGRB1_WG128_2_1_WGM1.kd'
    .language:                   OpenCL C
    .language_version:
      - 2
      - 0
    .args:
      - .name:            Tensor2dSizeA
        .size:            8
        .offset:          0
        .value_kind:      by_value
        .value_type:      u64
      - .name:            Tensor2dSizeB
        .size:            8
        .offset:          8
        .value_kind:      by_value
        .value_type:      u64
      - .name:            AddressD
        .size:            8
        .offset:          16
        .value_kind:      by_value
        .value_type:      u64
      - .name:            AddressC
        .size:            8
        .offset:          24
        .value_kind:      by_value
        .value_type:      u64
      - .name:            AddressA
        .size:            8
        .offset:          32
        .value_kind:      by_value
        .value_type:      u64
      - .name:            AddressB
        .size:            8
        .offset:          40
        .value_kind:      by_value
        .value_type:      u64
      - .name:            Alpha
        .size:            4
        .offset:          48
        .value_kind:      by_value
        .value_type:      u32
      - .name:            Beta
        .size:            4
        .offset:          52
        .value_kind:      by_value
        .value_type:      u32
      - .name:            StridesD
        .size:            8
        .offset:          56
        .value_kind:      by_value
        .value_type:      u64
      - .name:            StridesC
        .size:            8
        .offset:          64
        .value_kind:      by_value
        .value_type:      u64
      - .name:            StridesA
        .size:            8
        .offset:          72
        .value_kind:      by_value
        .value_type:      u64
      - .name:            StridesB
        .size:            8
        .offset:          80
        .value_kind:      by_value
        .value_type:      u64
      - .name:            SizesFree
        .size:            12
        .offset:          88
        .value_kind:      by_value
        .value_type:      u96
      - .name:            SizesSum
        .size:            4
        .offset:          100
        .value_kind:      by_value
        .value_type:      u32
      - .name:            NumWorkGroups0
        .size:            4
        .offset:          104
        .value_kind:      by_value
        .value_type:      u32
      - .name:            NumWorkGroups1
        .size:            4
        .offset:          108
        .value_kind:      by_value
        .value_type:      u32
    .group_segment_fixed_size:   32512
    .kernarg_segment_align:      8
    .kernarg_segment_size:       112
    .max_flat_workgroup_size:    256
    .private_segment_fixed_size: 0
    .sgpr_count:                 66
    .sgpr_spill_count:           0
    .vgpr_count:                 128
    .vgpr_spill_count:           0
    .wavefront_size:             64
...
.end_amdgpu_metadata
Cijk_Alik_Bljk_I8II_BH_MT128x96x64_MI32x32x8x1_SE_1LDSB0_APM1_AF0EM8_AF1EM1_AMAS0_ASE_ASAE01_ASCE01_ASEM1_BL1_DTLA0_DTLB0_DVO0_EPS0_FL0_GLVWA4_GLVWB4_GRVW4_GSU1_GSUASB_ISA908_IU1_K1_KLA_LBSPPA128_LBSPPB128_LPA16_LPB16_LDL1_LRVW16_LDW0_FMA_MDA2_MMFGLC_NTC0_NTD0_NEPBS0_NLCA1_NLCB1_ONLL1_OPLV0_PK0_PAP0_PGR2_PLR9_SIA3_SS0_SU0_SUM0_SUS0_SPO0_SRVW4_SSO0_SVW4_SNLL0_TT1_96_TLDS1_UMLDSA1_UMLDSB1_USFGROn1_VAW1_VSn1_VW1_VWB1_WSGRA1_WSGRB1_WG128_2_1_WGM1:

/******************************************/
/* Asm syntax workarounds                 */
/******************************************/
.macro _v_add_co_u32 dst:req, cc:req, src0:req, src1:req, dpp=
   v_add_co_u32 \dst, \cc, \src0, \src1 \dpp
.endm

.macro _v_add_u32 dst:req, src0:req, src1:req, dpp=
   v_add_u32 \dst, \src0, \src1 \dpp
.endm

.macro _v_add_i32 dst:req, src0:req, src1:req, dpp=
   v_add_i32 \dst, \src0, \src1 \dpp
.endm

.macro _v_addc_co_u32 dst:req, ccOut:req, src0:req, ccIn:req, src1:req, dpp=
   v_addc_co_u32 \dst, \ccOut, \src0, \ccIn, \src1 \dpp
.endm

.macro _v_sub_co_u32 dst:req, cc:req, src0:req, src1:req, dpp=
   v_sub_co_u32 \dst, \cc, \src0, \src1 \dpp
.endm

.macro _v_sub_u32 dst:req, src0:req, src1:req, dpp=
   v_sub_u32 \dst, \src0, \src1 \dpp
.endm

.macro _v_sub_i32 dst:req, src0:req, src1:req, dpp=
   v_sub_i32 \dst, \src0, \src1 \dpp
.endm

.macro _v_add_lshl_u32 dst:req, src0:req, src1:req, shiftCnt:req
    v_add_lshl_u32 \dst, \src0, \src1, \shiftCnt
.endm

.macro _v_lshl_add_u32 dst:req, src0:req, src1:req, shiftCnt:req
    v_lshl_add_u32 \dst, \src0, \src1, \shiftCnt
.endm

.macro _v_lshl_or_b32 dst:req, src0:req, shiftCnt:req, src1:req
    v_lshl_or_b32 \dst, \src0, \shiftCnt, \src1
.endm

.macro _v_dot2acc_f32_f16 dst, src0, src1
v_dot2c_f32_f16 \dst, \src0, \src1
.endm

.macro _v_cmpx_lt_i16 dst, src0, src1=
   v_cmpx_lt_i16 \dst, \src0, \src1 
.endm

.macro _v_cmpx_lt_i32 dst, src0, src1=
   v_cmpx_lt_i32 \dst, \src0, \src1 
.endm

.macro _v_cmpx_lt_i64 dst, src0, src1=
   v_cmpx_lt_i64 \dst, \src0, \src1 
.endm

.macro _v_cmpx_lt_u16 dst, src0, src1=
   v_cmpx_lt_u16 \dst, \src0, \src1 
.endm

.macro _v_cmpx_lt_u32 dst, src0, src1=
   v_cmpx_lt_u32 \dst, \src0, \src1 
.endm

.macro _v_cmpx_lt_u64 dst, src0, src1=
   v_cmpx_lt_u64 \dst, \src0, \src1 
.endm

.macro _v_cmpx_eq_i16 dst, src0, src1=
   v_cmpx_eq_i16 \dst, \src0, \src1 
.endm

.macro _v_cmpx_eq_i32 dst, src0, src1=
   v_cmpx_eq_i32 \dst, \src0, \src1 
.endm

.macro _v_cmpx_eq_i64 dst, src0, src1=
   v_cmpx_eq_i64 \dst, \src0, \src1 
.endm

.macro _v_cmpx_eq_u16 dst, src0, src1=
   v_cmpx_eq_u16 \dst, \src0, \src1 
.endm

.macro _v_cmpx_eq_u32 dst, src0, src1=
   v_cmpx_eq_u32 \dst, \src0, \src1 
.endm

.macro _v_cmpx_eq_u64 dst, src0, src1=
   v_cmpx_eq_u64 \dst, \src0, \src1 
.endm

.macro _v_cmpx_le_i16 dst, src0, src1=
   v_cmpx_le_i16 \dst, \src0, \src1 
.endm

.macro _v_cmpx_le_i32 dst, src0, src1=
   v_cmpx_le_i32 \dst, \src0, \src1 
.endm

.macro _v_cmpx_le_i64 dst, src0, src1=
   v_cmpx_le_i64 \dst, \src0, \src1 
.endm

.macro _v_cmpx_le_u16 dst, src0, src1=
   v_cmpx_le_u16 \dst, \src0, \src1 
.endm

.macro _v_cmpx_le_u32 dst, src0, src1=
   v_cmpx_le_u32 \dst, \src0, \src1 
.endm

.macro _v_cmpx_le_u64 dst, src0, src1=
   v_cmpx_le_u64 \dst, \src0, \src1 
.endm

.macro _v_cmpx_gt_i16 dst, src0, src1=
   v_cmpx_gt_i16 \dst, \src0, \src1 
.endm

.macro _v_cmpx_gt_i32 dst, src0, src1=
   v_cmpx_gt_i32 \dst, \src0, \src1 
.endm

.macro _v_cmpx_gt_i64 dst, src0, src1=
   v_cmpx_gt_i64 \dst, \src0, \src1 
.endm

.macro _v_cmpx_gt_u16 dst, src0, src1=
   v_cmpx_gt_u16 \dst, \src0, \src1 
.endm

.macro _v_cmpx_gt_u32 dst, src0, src1=
   v_cmpx_gt_u32 \dst, \src0, \src1 
.endm

.macro _v_cmpx_gt_u64 dst, src0, src1=
   v_cmpx_gt_u64 \dst, \src0, \src1 
.endm

.macro _v_cmpx_ne_i16 dst, src0, src1=
   v_cmpx_ne_i16 \dst, \src0, \src1 
.endm

.macro _v_cmpx_ne_i32 dst, src0, src1=
   v_cmpx_ne_i32 \dst, \src0, \src1 
.endm

.macro _v_cmpx_ne_i64 dst, src0, src1=
   v_cmpx_ne_i64 \dst, \src0, \src1 
.endm

.macro _v_cmpx_ne_u16 dst, src0, src1=
   v_cmpx_ne_u16 \dst, \src0, \src1 
.endm

.macro _v_cmpx_ne_u32 dst, src0, src1=
   v_cmpx_ne_u32 \dst, \src0, \src1 
.endm

.macro _v_cmpx_ne_u64 dst, src0, src1=
   v_cmpx_ne_u64 \dst, \src0, \src1 
.endm

.macro _v_cmpx_lg_i16 dst, src0, src1=
   v_cmpx_lg_i16 \dst, \src0, \src1 
.endm

.macro _v_cmpx_lg_i32 dst, src0, src1=
   v_cmpx_lg_i32 \dst, \src0, \src1 
.endm

.macro _v_cmpx_lg_i64 dst, src0, src1=
   v_cmpx_lg_i64 \dst, \src0, \src1 
.endm

.macro _v_cmpx_lg_u16 dst, src0, src1=
   v_cmpx_lg_u16 \dst, \src0, \src1 
.endm

.macro _v_cmpx_lg_u32 dst, src0, src1=
   v_cmpx_lg_u32 \dst, \src0, \src1 
.endm

.macro _v_cmpx_lg_u64 dst, src0, src1=
   v_cmpx_lg_u64 \dst, \src0, \src1 
.endm

.macro _v_cmpx_ge_i16 dst, src0, src1=
   v_cmpx_ge_i16 \dst, \src0, \src1 
.endm

.macro _v_cmpx_ge_i32 dst, src0, src1=
   v_cmpx_ge_i32 \dst, \src0, \src1 
.endm

.macro _v_cmpx_ge_i64 dst, src0, src1=
   v_cmpx_ge_i64 \dst, \src0, \src1 
.endm

.macro _v_cmpx_ge_u16 dst, src0, src1=
   v_cmpx_ge_u16 \dst, \src0, \src1 
.endm

.macro _v_cmpx_ge_u32 dst, src0, src1=
   v_cmpx_ge_u32 \dst, \src0, \src1 
.endm

.macro _v_cmpx_ge_u64 dst, src0, src1=
   v_cmpx_ge_u64 \dst, \src0, \src1 
.endm

.macro _v_cmpx_o_i16 dst, src0, src1=
   v_cmpx_o_i16 \dst, \src0, \src1 
.endm

.macro _v_cmpx_o_i32 dst, src0, src1=
   v_cmpx_o_i32 \dst, \src0, \src1 
.endm

.macro _v_cmpx_o_i64 dst, src0, src1=
   v_cmpx_o_i64 \dst, \src0, \src1 
.endm

.macro _v_cmpx_o_u16 dst, src0, src1=
   v_cmpx_o_u16 \dst, \src0, \src1 
.endm

.macro _v_cmpx_o_u32 dst, src0, src1=
   v_cmpx_o_u32 \dst, \src0, \src1 
.endm

.macro _v_cmpx_o_u64 dst, src0, src1=
   v_cmpx_o_u64 \dst, \src0, \src1 
.endm

.macro _v_cmpx_u_i16 dst, src0, src1=
   v_cmpx_u_i16 \dst, \src0, \src1 
.endm

.macro _v_cmpx_u_i32 dst, src0, src1=
   v_cmpx_u_i32 \dst, \src0, \src1 
.endm

.macro _v_cmpx_u_i64 dst, src0, src1=
   v_cmpx_u_i64 \dst, \src0, \src1 
.endm

.macro _v_cmpx_u_u16 dst, src0, src1=
   v_cmpx_u_u16 \dst, \src0, \src1 
.endm

.macro _v_cmpx_u_u32 dst, src0, src1=
   v_cmpx_u_u32 \dst, \src0, \src1 
.endm

.macro _v_cmpx_u_u64 dst, src0, src1=
   v_cmpx_u_u64 \dst, \src0, \src1 
.endm
.macro _v_mac_f32 c:req, a:req, b:req
    v_fmac_f32 \c, \a, \b
.endmacro

/* scale global load macros */
.macro _s_load_b32 dst base offset
    s_load_dword \dst \base \offset
.endm

.macro _s_load_b64 dst base offset
    s_load_dwordx2 \dst \base \offset
.endm

.macro _s_load_b128 dst base offset
    s_load_dwordx4 \dst \base \offset
.endm

.macro _s_load_b256 dst base offset
    s_load_dwordx8 \dst \base \offset
.endm

.macro _s_load_b512 dst base offset
    s_load_dwordx16 \dst \base \offset
.endm


/* ds operation macros */
.macro _ds_load_u8 dst src offset
    ds_read_u8 \dst \src \offset
.endm

.macro _ds_load_u8_d16_hi dst src offset
    ds_read_u8_d16_hi \dst \src \offset
.endm

.macro _ds_load_u16 dst src offset
    ds_read_u16 \dst \src \offset
.endm

.macro _ds_load_u16_d16_hi dst src offset
    ds_read_u16_d16_hi \dst \src \offset
.endm

.macro _ds_load_b32 dst src offset
    ds_read_b32 \dst \src \offset
.endm

.macro _ds_load_b64 dst src offset
    ds_read_b64 \dst \src \offset
.endm

.macro _ds_load_b128 dst src offset
    ds_read_b128 \dst \src \offset
.endm

.macro _ds_store_b8 dst src offset
    ds_write_b8 \dst \src \offset
.endm

.macro _ds_store_b8_d16_hi dst src offset
    ds_write_b8_d16_hi \dst \src \offset
.endm

.macro _ds_store_b16 dst src offset
    ds_write_b16 \dst \src \offset
.endm

.macro _ds_store_b16_d16_hi dst src offset
    ds_write_b16_d16_hi \dst \src \offset
.endm

.macro _ds_store_b32 dst src offset
    ds_write_b32 \dst \src \offset
.endm

.macro _ds_store_b64 dst src offset
    ds_write_b64 \dst \src \offset
.endm

.macro _ds_store_b128 dst src offset
    ds_write_b128 \dst \src \offset
.endm

.macro _ds_load2_b32 dst src offset1 offset2
    ds_read2_b32 \dst \src \offset1 \offset2
.endm

.macro _ds_load2_b64 dst src offset1 offset2
    ds_read2_b64 \dst \src \offset1 \offset2
.endm

.macro _ds_store2_b32 dst src offset1 offset2
    ds_write2_b32 \dst \src \offset1 \offset2
.endm

.macro _ds_store2_b64 dst src offset1 offset2
    ds_write2_b64 \dst \src \offset1 \offset2
.endm


/* buffer memory operation macros */
.macro _buffer_load_b32 dst voffset base soffset offen ioffset md0 md1 md2
    buffer_load_dword \dst \voffset \base \soffset \offen \ioffset \md0 \md1 \md2
.endm

.macro _buffer_load_b64 dst voffset base soffset offen ioffset md0 md1 md2
    buffer_load_dwordx2 \dst \voffset \base \soffset \offen \ioffset \md0 \md1 \md2
.endm

.macro _buffer_load_b96 dst voffset base soffset offen ioffset md0 md1 md2
    buffer_load_dwordx3 \dst \voffset \base \soffset \offen \ioffset \md0 \md1 \md2
.endm

.macro _buffer_load_b128 dst voffset base soffset offen ioffset md0 md1 md2
    buffer_load_dwordx4 \dst \voffset \base \soffset \offen \ioffset \md0 \md1 \md2
.endm

.macro _buffer_load_d16_b16 dst voffset base soffset offen ioffset md0 md1 md2
    buffer_load_short_d16 \dst \voffset \base \soffset \offen \ioffset \md0 \md1 \md2
.endm

.macro _buffer_load_d16_hi_b16 dst voffset base soffset offen ioffset md0 md1 md2
    buffer_load_short_d16_hi \dst \voffset \base \soffset \offen \ioffset \md0 \md1 \md2
.endm

.macro _buffer_load_d16_u8 dst voffset base soffset offen ioffset md0 md1 md2
    buffer_load_ubyte_d16 \dst \voffset \base \soffset \offen \ioffset \md0 \md1 \md2
.endm

.macro _buffer_load_d16_hi_u8 dst voffset base soffset offen ioffset md0 md1 md2
    buffer_load_ubyte_d16_hi \dst \voffset \base \soffset \offen \ioffset \md0 \md1 \md2
.endm

.macro _buffer_load_u16 dst voffset base soffset offen ioffset md0 md1 md2
    buffer_load_ushort \dst \voffset \base \soffset \offen \ioffset \md0 \md1 \md2
.endm

.macro _buffer_load_b32_dtl voffset base soffset offen ioffset md0 md1 md2
    buffer_load_dword \voffset \base \soffset \offen \ioffset \md0 \md1 \md2
.endm

.macro _buffer_load_b64_dtl voffset base soffset offen ioffset md0 md1 md2
    buffer_load_dwordx2 \voffset \base \soffset \offen \ioffset \md0 \md1 \md2
.endm

.macro _buffer_load_b128_dtl voffset base soffset offen ioffset md0 md1 md2
    buffer_load_dwordx4 \voffset \base \soffset \offen \ioffset \md0 \md1 \md2
.endm

.macro _buffer_load_u16_dtl voffset base soffset offen ioffset md0 md1 md2
    buffer_load_ushort \voffset \base \soffset \offen \ioffset \md0 \md1 \md2
.endm

.macro _buffer_store_b32 src voffset base soffset offen ioffset md0 md1 md2
    buffer_store_dword \src \voffset \base \soffset \offen \ioffset \md0 \md1 \md2
.endm

.macro _buffer_store_b64 src voffset base soffset offen ioffset md0 md1 md2
    buffer_store_dwordx2 \src \voffset \base \soffset \offen \ioffset \md0 \md1 \md2
.endm

.macro _buffer_store_b96 src voffset base soffset offen ioffset md0 md1 md2
    buffer_store_dwordx3 \src \voffset \base \soffset \offen \ioffset \md0 \md1 \md2
.endm

.macro _buffer_store_b128 src voffset base soffset offen ioffset md0 md1 md2
    buffer_store_dwordx4 \src \voffset \base \soffset \offen \ioffset \md0 \md1 \md2
.endm

.macro _buffer_store_b16 src voffset base soffset offen ioffset md0 md1 md2
    buffer_store_short \src \voffset \base \soffset \offen \ioffset \md0 \md1 \md2
.endm

.macro _buffer_store_d16_hi_b16 src voffset base soffset offen ioffset md0 md1 md2
    buffer_store_short_d16_hi \src \voffset \base \soffset \offen \ioffset \md0 \md1 \md2
.endm

.macro _buffer_store_b8 src voffset base soffset offen ioffset md0 md1 md2
    buffer_store_byte \src \voffset \base \soffset \offen \ioffset \md0 \md1 \md2
.endm

.macro _buffer_store_d16_hi_b8 src voffset base soffset offen ioffset md0 md1 md2
    buffer_store_byte_d16_hi \src \voffset \base \soffset \offen \ioffset \md0 \md1 \md2
.endm

.macro _buffer_atomic_cmpswap_b32 dst voffset base soffset offen ioffset md0 md1 md2
    buffer_atomic_cmpswap \dst \voffset \base \soffset \offen \ioffset \md0 \md1 \md2
.endm

.macro _buffer_atomic_cmpswap_b64 dst voffset base soffset offen ioffset md0 md1 md2
    buffer_atomic_cmpswap_x2 \dst \voffset \base \soffset \offen \ioffset \md0 \md1 \md2
.endm


/* buffer memory operation macros */
.macro _global_load_b32 dst base src ioffset md0 md1 md2
    global_load_dword \dst \base \src \ioffset \md0 \md1 \md2
.endm

.macro _global_load_b64 dst base src ioffset md0 md1 md2
    global_load_dwordx2 \dst \base \src \ioffset \md0 \md1 \md2
.endm

.macro _global_load_b96 dst base src ioffset md0 md1 md2
    global_load_dwordx3 \dst \base \src \ioffset \md0 \md1 \md2
.endm

.macro _global_load_b128 dst base src ioffset md0 md1 md2
    global_load_dwordx4 \dst \base \src \ioffset \md0 \md1 \md2
.endm

.macro _global_load_d16_b16 dst base src ioffset md0 md1 md2
    global_load_short_d16 \dst \base \src \ioffset \md0 \md1 \md2
.endm

.macro _global_load_d16_hi_b16 dst base src ioffset md0 md1 md2
    global_load_short_d16_hi \dst \base \src \ioffset \md0 \md1 \md2
.endm

.macro _global_load_d16_u8 dst base src ioffset md0 md1 md2
    global_load_ubyte_d16 \dst \base \src \ioffset \md0 \md1 \md2
.endm

.macro _global_load_d16_hi_u8 dst base src ioffset md0 md1 md2
    global_load_ubyte_d16_hi \dst \base \src \ioffset \md0 \md1 \md2
.endm

.macro _global_load_u16 dst base src ioffset md0 md1 md2
    global_load_ushort \dst \base \src \ioffset \md0 \md1 \md2
.endm

.macro _global_store_b32 base src src2 md0 md1 md2
    global_store_dword \base \src \src2 \md0 \md1 \md2
.endm

.macro _global_store_b64 base src src2 md0 md1 md2
    global_store_dwordx2 \base \src \src2 \md0 \md1 \md2
.endm

.macro _global_store_b96 base src src2 md0 md1 md2
    global_store_dwordx3 \base \src \src2 \md0 \md1 \md2
.endm

.macro _global_store_b128 base src src2 md0 md1 md2
    global_store_dwordx4 \base \src \src2 \md0 \md1 \md2
.endm

.macro _global_store_d16_b16 base src src2 md0 md1 md2
    global_store_short \base \src \src2 \md0 \md1 \md2
.endm

.macro _global_store_d16_hi_b16 base src src2 md0 md1 md2
    global_store_short_d16_hi \base \src \src2 \md0 \md1 \md2
.endm

.macro _global_store_d16_u8 base src src2 md0 md1 md2
    global_store_ubyte_d16 \base \src \src2 \md0 \md1 \md2
.endm

.macro _global_store_d16_hi_u8 base src src2 md0 md1 md2
    global_store_ubyte_d16_hi \base \src \src2 \md0 \md1 \md2
.endm

.macro _global_store_u16 base src src2 md0 md1 md2
    global_store_ushort \base \src \src2 \md0 \md1 \md2
.endm

.macro _global_atomic_cmpswap_b32 tmp base data src ioffset md
    global_atomic_cmpswap \tmp \base \data \src \ioffset \md
.endm

.macro _global_atomic_cmpswap_b64 tmp base data src ioffset md
    global_atomic_cmpswap_x2 \tmp \base \data \src \ioffset \md
.endm


/******************************************/
/* Magic div and mod functions            */
/******************************************/
.macro V_MAGIC_DIV dstIdx:req, dividend:req, magicNumber:req, magicShift:req, magicA:req
    v_mul_hi_u32 v[\dstIdx+1], \dividend, \magicNumber
    v_mul_lo_u32 v[\dstIdx+0], \dividend, \magicA
    _v_add_u32 v[\dstIdx+0], v[\dstIdx+0], v[\dstIdx+1]
    v_lshrrev_b32 v[\dstIdx+0], \magicShift, v[\dstIdx+0]
.endm

/******************************************/
/* VGPR Assignments                       */
/******************************************/
/* ValuC range: [0-0), serializedStore enabled */
.set vgprValuC, 0
/* ValuA/B   Xn=PLR buffer idx,  In=InnerUnroll idx */
.set vgprValuA_X0_I0, 0
.set vgprValuA_X1_I0, 1
.set vgprValuA_X2_I0, 2
.set vgprValuA_X3_I0, 3
.set vgprValuA_X4_I0, 4
.set vgprValuA_X5_I0, 5
.set vgprValuA_X6_I0, 6
.set vgprValuA_X7_I0, 7
.set vgprG2LA, 36
.set vgprValuB_X0_I0, 8
.set vgprValuB_X1_I0, 11
.set vgprValuB_X2_I0, 14
.set vgprValuB_X3_I0, 17
.set vgprValuB_X4_I0, 20
.set vgprValuB_X5_I0, 23
.set vgprValuB_X6_I0, 26
.set vgprValuB_X7_I0, 29
.set vgprG2LB, 44
.set vgprLocalWriteAddrA, 32
.set vgprLocalWriteAddrB, 33
.set vgprGlobalReadOffsetA, 34
.set vgprGlobalReadOffsetB, 35
.set vgprLocalReadAddrA, 50
.set vgprLocalReadAddrB, 51
.set vgprSerial, 52
/* Num VGPR=128 */
/* Num AccVGPR=48 */

/******************************************/
/* SGPR Assignments                       */
/******************************************/
.set sgprKernArgAddress, 0 // (2)
.set sgprWorkGroup0, 2 // (1)
.set sgprWorkGroup1, 3 // (1)
.set sgprWorkGroup2, 4 // (1)
.set sgprLoopCounterL, 5 // (1)
.set sgprOrigLoopCounter, 6 // (1)
.set sgprSrdA, 8 // (4)
.set sgprSrdB, 12 // (4)
.set sgprSrdD, 16 // (4)
.set sgprSrdC, 20 // (4)
.set sgprTensor2dSizeA, 24 // (2)
.set sgprTensor2dSizeB, 26 // (2)
.set sgprAddressD, 28 // (2)
.set sgprAddressC, 30 // (2)
.set sgprAddressA, 32 // (2)
.set sgprAddressB, 34 // (2)
.set sgprAlpha, 36 // (1)
.set sgprBeta, 37 // (1)
.set sgprStridesD, 38 // (2)
.set sgprStridesC, 40 // (2)
.set sgprStridesA, 42 // (2)
.set sgprStridesB, 44 // (2)
.set sgprSizesFree, 46 // (3)
.set sgprSizesSum, 49 // (1)
.set sgprNumWorkGroups0, 50 // (1)
.set sgprNumWorkGroups1, 51 // (1)
.set sgprShadowLimitA, 0 // (2)
.set sgprShadowLimitB, 28 // (2)
.set sgprGlobalReadIncsA, 7 // (1)
.set sgprGlobalReadIncsB, 30 // (1)
.set sgprScalarGlobalReadOffsetA, 54 // (7)
.set sgprScalarGlobalReadOffsetB, 31 // (5)
/* max SGPR=66 */

/* Size Assignments */
.set sgprSizeI, sgprSizesFree+0
.set sgprSizeJ, sgprSizesFree+1
.set sgprSizeK, sgprSizesFree+2
.set sgprSizeL, sgprSizesSum+0

/* Stride Assignments */
.set constStrideD0I, 1
.set sgprStrideD1J, sgprStridesD+0
.set sgprStrideDK, sgprStridesD+1
.set constStrideC0I, 1
.set sgprStrideC1J, sgprStridesC+0
.set sgprStrideCK, sgprStridesC+1
.set constStrideAL, 1
.set sgprStrideA0I, sgprStridesA+0
.set sgprStrideAK, sgprStridesA+1
.set constStrideBL, 1
.set sgprStrideB1J, sgprStridesB+0
.set sgprStrideBK, sgprStridesB+1

.set MT0, 128
.set MT1, 96
.set DepthU, 64
.set GSU, 1
.set BpeA, 1
.set BpeALog2, 0
.set BpeB, 1
.set BpeBLog2, 0
/* Number of elements to shift-left SRD */
.set SrdShiftLeftA, 4
.set SrdShiftLeftB, 4
/* 2GB limit - set offsets to -1 to exceed this and clamp */
.set BufferLimitA, 0xffffffff
.set BufferLimitB, 0xffffffff
.set BufferOOB, 0xfffff000

/******************************************/
/* Bits 127:96 of SRD.                    */
/* hex: 0x00020000                        */
/* dst_sel_x (3b): 0                      */
/* dst_sel_y (3b): 0                      */
/* dst_sel_z (3b): 0                      */
/* dst_sel_w (3b): 0                      */
/* num_format (3b): 0                     */
/* data_format (4b): 4                    */
/* user_vm_enable (1b): 0                 */
/* user_vm_mode (1b): 0                   */
/* index_stride (2b): 0                   */
/* add_tid_enable (1b): 0                 */
/* _unusedA (3b): 0                       */
/* nv (1b): 0                             */
/* _unusedB (2b): 0                       */
/* type (2b): 0                           */
/******************************************/
.set Srd127_96, 0x00020000

/* Global Offset A */
.macro GLOBAL_OFFSET_A vgprAddr:req vgprOffsetL:req vgprOffset0I:req vgprTmp:req
v_mul_lo_u32 v[\vgprTmp+0], s[sgprStrideA0I], v[\vgprOffset0I] // mul d1 lower
_v_add_co_u32 v[\vgprAddr+0], vcc, v[\vgprOffsetL], v[\vgprTmp+0] // accumulate K lower
_v_add_u32 v[\vgprAddr+0], 0x4, v[\vgprAddr+0]     // add prepad for pointer shift
                                                   // offset *= bytes/element (multiplier is 1, do nothing)
.endm

/* Global Offset B */
.macro GLOBAL_OFFSET_B vgprAddr:req vgprOffsetL:req vgprOffset1J:req vgprTmp:req
v_mul_lo_u32 v[\vgprTmp+0], s[sgprStrideB1J], v[\vgprOffset1J] // mul d1 lower
_v_add_co_u32 v[\vgprAddr+0], vcc, v[\vgprOffsetL], v[\vgprTmp+0] // accumulate K lower
_v_add_u32 v[\vgprAddr+0], 0x4, v[\vgprAddr+0]     // add prepad for pointer shift
                                                   // offset *= bytes/element (multiplier is 1, do nothing)
.endm

/******************************************/
/* Dynamic Scalar Divide: vQuotient=vDividend/vDivisor; vRemainder=vDividend%vDivisor; */
/******************************************/
.macro DYNAMIC_VECTOR_DIVIDE vQuotient vRemainder vDividend vDivisor vTmp0 vTmp1 sTmp
v_cvt_f32_u32 v[\vQuotient], v[\vDivisor]          // 
v_rcp_f32 v[\vQuotient], v[\vQuotient]             // 
v_mul_f32 v[\vQuotient], 0x4f800000, v[\vQuotient] // 
v_cvt_u32_f32 v[\vQuotient], v[\vQuotient]         // 
v_mul_lo_u32 v[\vRemainder], v[\vDivisor], v[\vQuotient] // 
v_mul_hi_u32 v[\vTmp0], v[\vDivisor], v[\vQuotient] // 
_v_sub_co_u32 v[\vTmp1], vcc, 0x0, v[\vRemainder]  // 
v_cmp_ne_i32 s[\sTmp:\sTmp+1], 0x0, v[\vTmp0]      // 
v_cndmask_b32 v[\vRemainder], v[\vTmp1], v[\vRemainder], s[\sTmp:\sTmp+1] // 
v_mul_hi_u32 v[\vRemainder], v[\vRemainder], v[\vQuotient] // 
_v_sub_co_u32 v[\vTmp0], vcc, v[\vQuotient], v[\vRemainder] // 
_v_add_co_u32 v[\vQuotient], vcc, v[\vQuotient], v[\vRemainder] // 
v_cndmask_b32 v[\vQuotient], v[\vQuotient], v[\vTmp0], s[\sTmp:\sTmp+1] // 
v_mul_hi_u32 v[\vQuotient], v[\vQuotient], v[\vDividend] // 
v_mul_lo_u32 v[\vRemainder], v[\vQuotient], v[\vDivisor] // 
_v_sub_co_u32 v[\vTmp0], vcc, v[\vDividend], v[\vRemainder] // 
v_cmp_ge_u32 s[\sTmp:\sTmp+1], v[\vDividend], v[\vRemainder] // 
_v_add_co_u32 v[\vRemainder], vcc, 0x1, v[\vQuotient] // 
_v_add_co_u32 v[\vTmp1], vcc, -1, v[\vQuotient]    // 
v_cmp_le_u32 vcc, v[\vDivisor], v[\vTmp0]          // 
s_and_b64 vcc, s[\sTmp:\sTmp+1], vcc               // 
v_cndmask_b32 v[\vQuotient], v[\vQuotient], v[\vRemainder], vcc // 
v_cndmask_b32 v[\vQuotient], v[\vTmp1], v[\vQuotient], s[\sTmp:\sTmp+1] // 
v_cmp_ne_i32 vcc, 0x0, v[\vDivisor]                // 
v_cndmask_b32 v[\vQuotient], -1, v[\vQuotient], vcc // final result
v_mul_lo_u32 v[\vRemainder], v[\vQuotient], v[\vDivisor] // 
_v_sub_co_u32 v[\vRemainder], vcc, v[\vDividend], v[\vRemainder] // final result
.endm


	;; [unrolled: 1-line block ×3, first 2 shown]
/******************************************/
/* Allocate Resources                     */
/******************************************/

Cijk_Alik_Bljk_I8II_BH_MT128x96x64_MI32x32x8x1_SE_1LDSB0_APM1_AF0EM8_AF1EM1_AMAS0_ASE_ASAE01_ASCE01_ASEM1_BL1_DTLA0_DTLB0_DVO0_EPS0_FL0_GLVWA4_GLVWB4_GRVW4_GSU1_GSUASB_ISA908_IU1_K1_KLA_LBSPPA128_LBSPPB128_LPA16_LPB16_LDL1_LRVW16_LDW0_FMA_MDA2_MMFGLC_NTC0_NTD0_NEPBS0_NLCA1_NLCB1_ONLL1_OPLV0_PK0_PAP0_PGR2_PLR9_SIA3_SS0_SU0_SUM0_SUS0_SPO0_SRVW4_SSO0_SVW4_SNLL0_TT1_96_TLDS1_UMLDSA1_UMLDSB1_USFGROn1_VAW1_VSn1_VW1_VWB1_WSGRA1_WSGRB1_WG128_2_1_WGM1_preloaded: // Kernel start when preloading

/* Load Kernel Args */
_s_load_b512 s[24:39], s[sgprKernArgAddress:sgprKernArgAddress+1], 0x0 // 
_s_load_b256 s[40:47], s[sgprKernArgAddress:sgprKernArgAddress+1], 0x40 // 
_s_load_b128 s[48:51], s[sgprKernArgAddress:sgprKernArgAddress+1], 0x60 // 
s_mov_b32 m0, 0x7f00                               // LDS clamp at 32512 bytes
v_mov_b32 v[vgprSerial], v0                        // thread serial id

/******************************************/
/* Local Read Addresses                   */
/******************************************/


/* local read addresses: tile assignments a/b */

/*lr0I*/
v_and_b32 v1, 63, v[vgprSerial]                    // 0. thread id in wave: wtid = tid % wavelength(64)
v_and_b32 v0, 31, v1                               // 1. N offset: nIdx = wtid % MI_N(32)
v_lshlrev_b32 v0, 0x6, v0                          // 1. N offset: nOffset = nIdx * nStride(64)
                                                   // 2. block offset: bnIdx = bnIdx % num1DBlocks(1) is 0. do nothing
                                                   // 4. apply VectorWidth: bnOffset = bnOffset * vw(1) (multiplier is 1, do nothing)
v_lshrrev_b32 v1, 5, v1                            // 5. K offset: kIdx = wtid / (MIN(32) * MIBB(1))
v_lshlrev_b32 v1, 0x4, v1                          // 5. K offset: lrKOffset = kIdx * mStride(16)
_v_add_u32 v0, v1, v0                              // 6. offset in wave: lrOffset = bnOffset + lrKOffset
v_lshrrev_b32 v2, 6, v[vgprSerial]                 // 7. wave offset in N dimen: wtid = tid / dividedForWaveId(64)
v_and_b32 v1, 3, v2                                // 7. wave offset in M dimen: wtid0 = wtid / num1DWaves(4)
v_lshlrev_b32 v1, 0xb, v1                          // 7. wave offset in M dimen: wOffset = wtid0 * W0Stride(2048)
_v_add_u32 v0, v1, v0                              // 8. final local read offset: flrOffset = lrOffset + WOffset
/*lr1J*/
v_and_b32 v2, 63, v[vgprSerial]                    // 0. thread id in wave: wtid = tid % wavelength(64)
v_and_b32 v1, 31, v2                               // 1. N offset: nIdx = wtid % MI_N(32)
v_lshlrev_b32 v1, 0x6, v1                          // 1. N offset: nOffset = nIdx * nStride(64)
                                                   // 2. block offset: bnIdx = bnIdx % num1DBlocks(1) is 0. do nothing
                                                   // 4. apply VectorWidth: bnOffset = bnOffset * vw(1) (multiplier is 1, do nothing)
v_lshrrev_b32 v2, 5, v2                            // 5. K offset: kIdx = wtid / (MIN(32) * MIBB(1))
v_lshlrev_b32 v2, 0x4, v2                          // 5. K offset: lrKOffset = kIdx * mStride(16)
_v_add_u32 v1, v2, v1                              // 6. offset in wave: lrOffset = bnOffset + lrKOffset


/* local read addresses: final offsets a */

v_lshlrev_b32 v[vgprLocalReadAddrA], 0x0, v0       // Final Offset: offset = (lro0)*bpe
v_lshrrev_b32 v0, 7, v[vgprLocalReadAddrA]         // Final Offset: padding 16 per block 128
v_lshlrev_b32 v0, 0x4, v0                          // Final Offset: padding 16 per block 128
_v_add_u32 v[vgprLocalReadAddrA], v0, v[vgprLocalReadAddrA] // Final Offset: add padding 16 per block 128


/* local read addresses: final offsets b */

v_lshlrev_b32 v[vgprLocalReadAddrB], 0x0, v1       // Final Offset: offset = (lro1)*bpe
v_lshrrev_b32 v0, 7, v[vgprLocalReadAddrB]         // Final Offset: padding 16 per block 128
v_lshlrev_b32 v0, 0x4, v0                          // Final Offset: padding 16 per block 128
_v_add_u32 v[vgprLocalReadAddrB], v0, v[vgprLocalReadAddrB] // Final Offset: add padding 16 per block 128


/* local read addresses: declare addresses a */

/* N/A */


/* local read addresses: declare addresses b */

_v_add_co_u32 v[vgprLocalReadAddrB+0], vcc, 0x2400, v[vgprLocalReadAddrB+0] //  += LdsOffsetB (lower)


/* global read addresses: tile offset assignment a */

/* LVCA = 16 */
/* v0 = (local)groA-tile = serial/LVCA (note (wgA*MTA) will be added to SRD) */
/* v1 = groA-unroll = serial%LVCA */
v_and_b32 v2, 63, v[vgprSerial]                    // v2 = v[vgprSerial] % 64
v_lshrrev_b32 v0, 4, v2                            // v0 = v2 / 16
v_and_b32 v1, 15, v2                               // v1 = v2 % 16
v_readfirstlane_b32 s52, v[vgprSerial]             // WaveIdxWavefrontWidth
s_lshr_b32 s52, s52, 0x6                           // WaveId
s_mul_i32 s52, s52, 32                             // Global Read Wave: each wave loads continuous lsp(4)*nrp(8) columns
_v_add_u32 v0, s52, v0                             // Global Read Wave: add back to column index
/* gro-unroll *= glvw */
v_lshlrev_b32 v1, 0x2, v1                          // v1 = v1 * 4


/* global read addresses: tile offset assignment b */

/* LVCB = 16 */
/* v2 = (local)groB-tile = serial/LVCB (note (wgB*MTB) will be added to SRD) */
/* v3 = groB-unroll = serial%LVCB */
v_and_b32 v4, 63, v[vgprSerial]                    // v4 = v[vgprSerial] % 64
v_lshrrev_b32 v2, 4, v4                            // v2 = v4 / 16
v_and_b32 v3, 15, v4                               // v3 = v4 % 16
v_readfirstlane_b32 s52, v[vgprSerial]             // WaveIdxWavefrontWidth
s_lshr_b32 s52, s52, 0x6                           // WaveId
s_mul_i32 s52, s52, 24                             // Global Read Wave: each wave loads continuous lsp(4)*nrp(6) columns
_v_add_u32 v2, s52, v2                             // Global Read Wave: add back to column index
/* gro-unroll *= glvw */
v_lshlrev_b32 v3, 0x2, v3                          // v3 = v3 * 4


/******************************************/
/* Local Write Addresses                  */
/******************************************/

/* lwaTileAssignmentA = v0 */

/* lwaTileAssignmentB = v2 */

/* lwaUnrollAssignmentA = v1 */

/* lwaUnrollAssignmentB = v3 */


/* local write addresses: first offset a */

v_mul_u32_u24 v[vgprLocalWriteAddrA], 0x40, v0     // lwAL**(DepthU_Compute + PAD)
_v_add_lshl_u32 v[vgprLocalWriteAddrA], v1, v[vgprLocalWriteAddrA], 0x0 // lwFOA = (lwAA + lwAL*(DepthU+PAD))*bpe
v_lshrrev_b32 v4, 7, v[vgprLocalWriteAddrA]        // padding 16 per block 128
v_lshlrev_b32 v4, 0x4, v4                          // padding 16 per block 128
_v_add_u32 v[vgprLocalWriteAddrA], v4, v[vgprLocalWriteAddrA] // add padding 16 per block 128


/* local write addresses: first offset b */

v_mul_u32_u24 v[vgprLocalWriteAddrB], 0x40, v2     // lwBL**(DepthU_Compute + PAD)
_v_add_lshl_u32 v[vgprLocalWriteAddrB], v3, v[vgprLocalWriteAddrB], 0x0 // lwFOB = (lwBB + lwBL*(DepthU+PAD))*bpe
v_lshrrev_b32 v4, 7, v[vgprLocalWriteAddrB]        // padding 16 per block 128
v_lshlrev_b32 v4, 0x4, v4                          // padding 16 per block 128
_v_add_u32 v[vgprLocalWriteAddrB], v4, v[vgprLocalWriteAddrB] // add padding 16 per block 128
_v_add_co_u32 v[vgprLocalWriteAddrB], vcc, 0x2400, v[vgprLocalWriteAddrB] // lwFOB = lwB1J + lwBL*MT1J + LDS_OFFSET_B=9216*1


	;; [unrolled: 1-line block ×7, first 2 shown]
s_waitcnt lgkmcnt(0)                               // wait for 112 bytes of kern args
s_mov_b64 s[sgprSrdC+0:sgprSrdC+0+1], s[sgprAddressC+0:sgprAddressC+0+1] // copy addressC
s_mov_b64 s[sgprSrdD+0:sgprSrdD+0+1], s[sgprAddressD+0:sgprAddressD+0+1] // copy addressD
s_sub_u32 s[sgprSrdA+0], s[sgprAddressA+0], 4      // pre-pad to make room for possible pointer shift
s_subb_u32 s[sgprSrdA+1], s[sgprAddressA+1], 0     // pre-pad to make room for possible pointer shift
s_sub_u32 s[sgprSrdB+0], s[sgprAddressB+0], 4      // pre-pad to make room for possible pointer shift
s_subb_u32 s[sgprSrdB+1], s[sgprAddressB+1], 0     // pre-pad to make room for possible pointer shift

.set AddressD, UNDEF
.set AddressC, UNDEF
.set AddressA, UNDEF
.set AddressB, UNDEF

/* Short circuit condition if Alpha == 0, then sumDims=0 */
s_cmp_eq_u32 s[sgprAlpha], 0                       // Alpha == 0 ?
s_cmov_b32 s[sgprSizesSum+0], 0x0                  // Set summation dim=0 if Alpha == 0


	;; [unrolled: 1-line block ×3, first 2 shown]
/******************************************/
/* Begin setupNewTile, isPap=False           */
/******************************************/


/* global read addresses: work-group */

/* graWorkGroup mapping */


/* global read addresses: unroll assignment a */

/* v1 */


/* global read addresses: unroll assignment b */

/* v3 */


/* global read addresses: other free assignments */

/* s[sgprWorkGroup2] */


/* global read addresses: tile offsets a */


	;; [unrolled: 1-line block ×3, first 2 shown]
/* global read addresses: tile offsets b */


	;; [unrolled: 1-line block ×3, first 2 shown]
/* global read addresses: unroll offsets a */



/* global read addresses: unroll offsets b */


	;; [unrolled: 1-line block ×3, first 2 shown]
/* global read addresses: final offsets a */

GLOBAL_OFFSET_A vgprGlobalReadOffsetA+0,  1,  0, 4 // gROA_0_0_0_0
s_mul_i32 s[sgprScalarGlobalReadOffsetA+0], s[sgprStrideA0I], 4 // compute offset diff (scaled tileDim)
s_lshl_b32 s[sgprScalarGlobalReadOffsetA+0], s[sgprScalarGlobalReadOffsetA+0], 0x0 // scalar offset *= bytes/element
s_mul_i32 s[sgprScalarGlobalReadOffsetA+1], s[sgprStrideA0I], 8 // compute offset diff (scaled tileDim)
s_lshl_b32 s[sgprScalarGlobalReadOffsetA+1], s[sgprScalarGlobalReadOffsetA+1], 0x0 // scalar offset *= bytes/element
	;; [unrolled: 2-line block ×7, first 2 shown]


/* global read addresses: final offsets b */

GLOBAL_OFFSET_B vgprGlobalReadOffsetB+0,  3,  2, 4 // gROB_0_0_0_0
s_mul_i32 s[sgprScalarGlobalReadOffsetB+0], s[sgprStrideB1J], 4 // compute offset diff (scaled tileDim)
s_lshl_b32 s[sgprScalarGlobalReadOffsetB+0], s[sgprScalarGlobalReadOffsetB+0], 0x0 // scalar offset *= bytes/element
s_mul_i32 s[sgprScalarGlobalReadOffsetB+1], s[sgprStrideB1J], 8 // compute offset diff (scaled tileDim)
s_lshl_b32 s[sgprScalarGlobalReadOffsetB+1], s[sgprScalarGlobalReadOffsetB+1], 0x0 // scalar offset *= bytes/element
	;; [unrolled: 2-line block ×5, first 2 shown]


/* global read addresses: addresses a */

/* max read offset = size[n] * stride[n-1] */
s_mul_hi_u32 s65, s[sgprWorkGroup0], 128           // WorkGroup[01] * MT
s_mul_i32 s64, s[sgprWorkGroup0], 128              // WorkGroup[01] * MT
s_mul_hi_u32 s65, s64, s[sgprStrideA0I]            // tlu=0, scaled tile-offset by stride
s_mul_i32 s64, s64, s[sgprStrideA0I]               // tlu=0, scaled tile-offset by stride
s_sub_u32 s[sgprShadowLimitA+0], s[sgprTensor2dSizeA], s64 // sub tileStart
s_subb_u32 s[sgprShadowLimitA+1], s[sgprTensor2dSizeA+1], s65 // sub tileStart
s_lshl_b64 s[sgprShadowLimitA:sgprShadowLimitA+1], s[sgprShadowLimitA:sgprShadowLimitA+1], 0x0 // Set limit to use bytes
s_add_u32 s[sgprShadowLimitA+0], s[sgprShadowLimitA+0], 4 // extend limit for pre-pad
s_addc_u32 s[sgprShadowLimitA+1], s[sgprShadowLimitA+1], 0 // extend limit for pre-pad
s_cmp_eq_u32 s[sgprShadowLimitA+1], 0              // are we within 2^32?
s_cselect_b32 s[sgprSrdA+2], s[sgprShadowLimitA+0], BufferLimitA // Move shadow to real if we are within 2^32
s_mul_hi_u32 s63, s[sgprStrideAK], s[sgprWorkGroup2] // Stride*WG
s_mul_i32 s62, s[sgprStrideAK], s[sgprWorkGroup2]  // Stride*WG
s_add_u32 s64, s64, s62                            // accum wg term to tilestart
s_addc_u32 s65, s65, s63                           // accum wg term to tilestart
                                                   // tileStart *= BPE (multiplier is 1, do nothing)
s_add_u32 s[sgprSrdA+0], s[sgprSrdA+0], s64        // SRD base = Address+ tileStart0
s_addc_u32 s[sgprSrdA+1], s[sgprSrdA+1], s65       // SRD base = Address+ tileStart1
s_mov_b32 s[sgprSrdA+3], Srd127_96                 // Set bits 127_96 in SRD


/* global read addresses: addresses b */

/* max read offset = size[n] * stride[n-1] */
s_mul_hi_u32 s65, s[sgprWorkGroup1], 96            // WorkGroup[01] * MT
s_mul_i32 s64, s[sgprWorkGroup1], 96               // WorkGroup[01] * MT
s_mul_hi_u32 s65, s64, s[sgprStrideB1J]            // tlu=0, scaled tile-offset by stride
s_mul_i32 s64, s64, s[sgprStrideB1J]               // tlu=0, scaled tile-offset by stride
s_sub_u32 s[sgprShadowLimitB+0], s[sgprTensor2dSizeB], s64 // sub tileStart
s_subb_u32 s[sgprShadowLimitB+1], s[sgprTensor2dSizeB+1], s65 // sub tileStart
s_lshl_b64 s[sgprShadowLimitB:sgprShadowLimitB+1], s[sgprShadowLimitB:sgprShadowLimitB+1], 0x0 // Set limit to use bytes
s_add_u32 s[sgprShadowLimitB+0], s[sgprShadowLimitB+0], 4 // extend limit for pre-pad
s_addc_u32 s[sgprShadowLimitB+1], s[sgprShadowLimitB+1], 0 // extend limit for pre-pad
s_cmp_eq_u32 s[sgprShadowLimitB+1], 0              // are we within 2^32?
s_cselect_b32 s[sgprSrdB+2], s[sgprShadowLimitB+0], BufferLimitB // Move shadow to real if we are within 2^32
s_mul_hi_u32 s63, s[sgprStrideBK], s[sgprWorkGroup2] // Stride*WG
s_mul_i32 s62, s[sgprStrideBK], s[sgprWorkGroup2]  // Stride*WG
s_add_u32 s64, s64, s62                            // accum wg term to tilestart
s_addc_u32 s65, s65, s63                           // accum wg term to tilestart
                                                   // tileStart *= BPE (multiplier is 1, do nothing)
s_add_u32 s[sgprSrdB+0], s[sgprSrdB+0], s64        // SRD base = Address+ tileStart0
s_addc_u32 s[sgprSrdB+1], s[sgprSrdB+1], s65       // SRD base = Address+ tileStart1
s_mov_b32 s[sgprSrdB+3], Srd127_96                 // Set bits 127_96 in SRD


/* global read addresses: increments a */

s_mov_b32 s[sgprGlobalReadIncsA+0], DepthU*BpeA    // incrA (unrollIdx)


/* global read addresses: increments b */

s_mov_b32 s[sgprGlobalReadIncsB+0], DepthU*BpeB    // incrB (unrollIdx)

/* declare loop num iterations */


s_lshr_b32 s[sgprLoopCounterL], s[sgprSizesSum+0], 6 // s[sgprLoopCounterL] = s[sgprSizesSum+0] / 64
s_mov_b32 s[sgprOrigLoopCounter], s[sgprLoopCounterL] // copy loop counter

/* local read addresses: init pointers a */


/* localReadInitPointers */

/* local read addresses: init pointers b */


/* localReadInitPointers */


/* prefetch: global -> local */

s_cmp_eq_u32 s[sgprLoopCounterL], 0                // at last iteration?
s_cbranch_scc1 ShadowInitStart_10                  // skip to ShadowInitStart iter b/c numIter==0


_buffer_load_b32 v[vgprG2LA+0], v[vgprGlobalReadOffsetA+0], s[sgprSrdA:sgprSrdA+3], 0, offen offset:0 // G -> Reg 0_0_0_0
_buffer_load_b32 v[vgprG2LA+1], v[vgprGlobalReadOffsetA+0], s[sgprSrdA:sgprSrdA+3], s[sgprScalarGlobalReadOffsetA+0], offen offset:0 // G -> Reg 0_0_1_0
_buffer_load_b32 v[vgprG2LA+2], v[vgprGlobalReadOffsetA+0], s[sgprSrdA:sgprSrdA+3], s[sgprScalarGlobalReadOffsetA+1], offen offset:0 // G -> Reg 0_0_2_0
_buffer_load_b32 v[vgprG2LA+3], v[vgprGlobalReadOffsetA+0], s[sgprSrdA:sgprSrdA+3], s[sgprScalarGlobalReadOffsetA+2], offen offset:0 // G -> Reg 0_0_3_0
_buffer_load_b32 v[vgprG2LA+4], v[vgprGlobalReadOffsetA+0], s[sgprSrdA:sgprSrdA+3], s[sgprScalarGlobalReadOffsetA+3], offen offset:0 // G -> Reg 0_0_4_0
_buffer_load_b32 v[vgprG2LA+5], v[vgprGlobalReadOffsetA+0], s[sgprSrdA:sgprSrdA+3], s[sgprScalarGlobalReadOffsetA+4], offen offset:0 // G -> Reg 0_0_5_0
_buffer_load_b32 v[vgprG2LA+6], v[vgprGlobalReadOffsetA+0], s[sgprSrdA:sgprSrdA+3], s[sgprScalarGlobalReadOffsetA+5], offen offset:0 // G -> Reg 0_0_6_0
_buffer_load_b32 v[vgprG2LA+7], v[vgprGlobalReadOffsetA+0], s[sgprSrdA:sgprSrdA+3], s[sgprScalarGlobalReadOffsetA+6], offen offset:0 // G -> Reg 0_0_7_0


_buffer_load_b32 v[vgprG2LB+0], v[vgprGlobalReadOffsetB+0], s[sgprSrdB:sgprSrdB+3], 0, offen offset:0 // G -> Reg 0_0_0_0
_buffer_load_b32 v[vgprG2LB+1], v[vgprGlobalReadOffsetB+0], s[sgprSrdB:sgprSrdB+3], s[sgprScalarGlobalReadOffsetB+0], offen offset:0 // G -> Reg 0_0_1_0
_buffer_load_b32 v[vgprG2LB+2], v[vgprGlobalReadOffsetB+0], s[sgprSrdB:sgprSrdB+3], s[sgprScalarGlobalReadOffsetB+1], offen offset:0 // G -> Reg 0_0_2_0
_buffer_load_b32 v[vgprG2LB+3], v[vgprGlobalReadOffsetB+0], s[sgprSrdB:sgprSrdB+3], s[sgprScalarGlobalReadOffsetB+2], offen offset:0 // G -> Reg 0_0_3_0
_buffer_load_b32 v[vgprG2LB+4], v[vgprGlobalReadOffsetB+0], s[sgprSrdB:sgprSrdB+3], s[sgprScalarGlobalReadOffsetB+3], offen offset:0 // G -> Reg 0_0_4_0
_buffer_load_b32 v[vgprG2LB+5], v[vgprGlobalReadOffsetB+0], s[sgprSrdB:sgprSrdB+3], s[sgprScalarGlobalReadOffsetB+4], offen offset:0 // G -> Reg 0_0_5_0


/* global read inc A loopL */
s_add_u32 s[sgprSrdA+0], s[sgprSrdA+0], s[sgprGlobalReadIncsA+0] // gra SRD += inc(lower)
s_addc_u32  s[sgprSrdA+1], s[sgprSrdA+1], 0        // gra SRD += inc(upper)
s_sub_u32 s[sgprShadowLimitA+0], s[sgprShadowLimitA+0], s[sgprGlobalReadIncsA+0] // limit -= inc)
s_subb_u32 s[sgprShadowLimitA+1], s[sgprShadowLimitA+1], 0 // limit -= inc)
s_cmp_eq_u32 s[sgprShadowLimitA+1], 0              // are we within 2^32?
s_cmov_b32 s[sgprSrdA+2], s[sgprShadowLimitA+0]    // Move shadow to real if we are within 2^32

/* global read inc B loopL */
s_add_u32 s[sgprSrdB+0], s[sgprSrdB+0], s[sgprGlobalReadIncsB+0] // gra SRD += inc(lower)
s_addc_u32  s[sgprSrdB+1], s[sgprSrdB+1], 0        // gra SRD += inc(upper)
s_sub_u32 s[sgprShadowLimitB+0], s[sgprShadowLimitB+0], s[sgprGlobalReadIncsB+0] // limit -= inc)
s_subb_u32 s[sgprShadowLimitB+1], s[sgprShadowLimitB+1], 0 // limit -= inc)
s_cmp_eq_u32 s[sgprShadowLimitB+1], 0              // are we within 2^32?
s_cmov_b32 s[sgprSrdB+2], s[sgprShadowLimitB+0]    // Move shadow to real if we are within 2^32


/******************************************/
/* End setupNewTile, isPap=False             */
/******************************************/

ShadowInitStart_10: // 

s_mov_b32 s[sgprSrdD+2], BufferOOB                 // 
s_mov_b32 s[sgprSrdD+3], Srd127_96                 // Set bits 127_96 in post-loop SRD

s_mov_b32 s[sgprSrdC+2], BufferOOB                 // 
s_mov_b32 s[sgprSrdC+3], Srd127_96                 // Set bits 127_96 in post-loop SRD


s_mul_i32 s64, MT1, s[sgprWorkGroup1]              // <- wg1*MT1
s_mul_hi_u32 s63, s64, s[sgprStrideC1J]            // CScale s64 by Stride
s_mul_i32 s62, s64, s[sgprStrideC1J]               // CScale s64 by Stride
s_lshl_b64 s[62:63], s[62:63], 2                   // scale by bpe
s_add_u32 s[sgprSrdC+0], s[sgprSrdC+0], s62        // add lo to SRD
s_addc_u32 s[sgprSrdC+1], s[sgprSrdC+1], s63       // add hi to SRD
s_mul_hi_u32 s63, s64, s[sgprStrideD1J]            // Scale s64 by Stride
s_mul_i32 s62, s64, s[sgprStrideD1J]               // Scale s64 by Stride
s_lshl_b64 s[62:63], s[62:63], 2                   // scale by bpe
s_add_u32 s[sgprSrdD+0], s[sgprSrdD+0], s62        // add lo to SRD
s_addc_u32 s[sgprSrdD+1], s[sgprSrdD+1], s63       // add hi to SRD

s_mul_hi_u32 s63, s[sgprWorkGroup2], s[sgprStrideCK] // CScale s[sgprWorkGroup2] by Stride
s_mul_i32 s62, s[sgprWorkGroup2], s[sgprStrideCK]  // CScale s[sgprWorkGroup2] by Stride
s_lshl_b64 s[62:63], s[62:63], 2                   // scale by bpe
s_add_u32 s[sgprSrdC+0], s[sgprSrdC+0], s62        // add lo to SRD
s_addc_u32 s[sgprSrdC+1], s[sgprSrdC+1], s63       // add hi to SRD
s_mul_hi_u32 s63, s[sgprWorkGroup2], s[sgprStrideDK] // Scale s[sgprWorkGroup2] by Stride
s_mul_i32 s62, s[sgprWorkGroup2], s[sgprStrideDK]  // Scale s[sgprWorkGroup2] by Stride
s_lshl_b64 s[62:63], s[62:63], 2                   // scale by bpe
s_add_u32 s[sgprSrdD+0], s[sgprSrdD+0], s62        // add lo to SRD
s_addc_u32 s[sgprSrdD+1], s[sgprSrdD+1], s63       // add hi to SRD


	;; [unrolled: 1-line block ×3, first 2 shown]
/* initC: remove C-tile 0-0 from pool */

/* initC: remove AB-tile 0-32 from pool */
v_accvgpr_write acc0, 0x0                          // initC
v_accvgpr_write acc1, 0x0                          // initC
v_accvgpr_write acc2, 0x0                          // initC
v_accvgpr_write acc3, 0x0                          // initC
v_accvgpr_write acc4, 0x0                          // initC
v_accvgpr_write acc5, 0x0                          // initC
v_accvgpr_write acc6, 0x0                          // initC
v_accvgpr_write acc7, 0x0                          // initC
v_accvgpr_write acc8, 0x0                          // initC
v_accvgpr_write acc9, 0x0                          // initC
v_accvgpr_write acc10, 0x0                         // initC
v_accvgpr_write acc11, 0x0                         // initC
v_accvgpr_write acc12, 0x0                         // initC
v_accvgpr_write acc13, 0x0                         // initC
v_accvgpr_write acc14, 0x0                         // initC
v_accvgpr_write acc15, 0x0                         // initC
v_accvgpr_write acc16, 0x0                         // initC
v_accvgpr_write acc17, 0x0                         // initC
v_accvgpr_write acc18, 0x0                         // initC
v_accvgpr_write acc19, 0x0                         // initC
v_accvgpr_write acc20, 0x0                         // initC
v_accvgpr_write acc21, 0x0                         // initC
v_accvgpr_write acc22, 0x0                         // initC
v_accvgpr_write acc23, 0x0                         // initC
v_accvgpr_write acc24, 0x0                         // initC
v_accvgpr_write acc25, 0x0                         // initC
v_accvgpr_write acc26, 0x0                         // initC
v_accvgpr_write acc27, 0x0                         // initC
v_accvgpr_write acc28, 0x0                         // initC
v_accvgpr_write acc29, 0x0                         // initC
v_accvgpr_write acc30, 0x0                         // initC
v_accvgpr_write acc31, 0x0                         // initC
v_accvgpr_write acc32, 0x0                         // initC
v_accvgpr_write acc33, 0x0                         // initC
v_accvgpr_write acc34, 0x0                         // initC
v_accvgpr_write acc35, 0x0                         // initC
v_accvgpr_write acc36, 0x0                         // initC
v_accvgpr_write acc37, 0x0                         // initC
v_accvgpr_write acc38, 0x0                         // initC
v_accvgpr_write acc39, 0x0                         // initC
v_accvgpr_write acc40, 0x0                         // initC
v_accvgpr_write acc41, 0x0                         // initC
v_accvgpr_write acc42, 0x0                         // initC
v_accvgpr_write acc43, 0x0                         // initC
v_accvgpr_write acc44, 0x0                         // initC
v_accvgpr_write acc45, 0x0                         // initC
v_accvgpr_write acc46, 0x0                         // initC
v_accvgpr_write acc47, 0x0                         // initC

s_cmp_eq_u32 s[sgprLoopCounterL], 0                // at last iteration?

/* after InitC, skip to end of prefetch last iter if numIter==0 */
s_cbranch_scc0 label_NoBranch_11                   // Only branch on scc1
s_getpc_B64 s[62:63]                               // addr of next instr
s_add_i32 s64, PrefetchGlobalLastIterEnd_5, 0x4    // target branch offset
s_add_u32 s62, s62, s64                            // add target branch offset
s_addc_u32 s63, s63, 0                             // add high and carry
s_setpc_b64 s[62:63]                               // branch to PrefetchGlobalLastIterEnd_5
label_NoBranch_11:

s_waitcnt vmcnt(0)                                 // lgkmcnt=-1 vmcnt=0 8wait for global read


/* local write a */
_ds_store_b32 v[vgprLocalWriteAddrA], v[vgprG2LA+0] offset:0 // lwoA_0_0_0_0 = (0*LSCA)*(MT0I+PAD) + (0*LSPA) = 0
_ds_store_b32 v[vgprLocalWriteAddrA], v[vgprG2LA+1] offset:288 // lwoA_0_0_1_0 = (0*LSCA)*(MT0I+PAD) + (1*LSPA) = 288
_ds_store_b32 v[vgprLocalWriteAddrA], v[vgprG2LA+2] offset:576 // lwoA_0_0_2_0 = (0*LSCA)*(MT0I+PAD) + (2*LSPA) = 576
_ds_store_b32 v[vgprLocalWriteAddrA], v[vgprG2LA+3] offset:864 // lwoA_0_0_3_0 = (0*LSCA)*(MT0I+PAD) + (3*LSPA) = 864
_ds_store_b32 v[vgprLocalWriteAddrA], v[vgprG2LA+4] offset:1152 // lwoA_0_0_4_0 = (0*LSCA)*(MT0I+PAD) + (4*LSPA) = 1152
_ds_store_b32 v[vgprLocalWriteAddrA], v[vgprG2LA+5] offset:1440 // lwoA_0_0_5_0 = (0*LSCA)*(MT0I+PAD) + (5*LSPA) = 1440
_ds_store_b32 v[vgprLocalWriteAddrA], v[vgprG2LA+6] offset:1728 // lwoA_0_0_6_0 = (0*LSCA)*(MT0I+PAD) + (6*LSPA) = 1728
_ds_store_b32 v[vgprLocalWriteAddrA], v[vgprG2LA+7] offset:2016 // lwoA_0_0_7_0 = (0*LSCA)*(MT0I+PAD) + (7*LSPA) = 2016

/* local write b */
_ds_store_b32 v[vgprLocalWriteAddrB], v[vgprG2LB+0] offset:0 // lwoB_0_0_0_0 = (0*LSCB)*(MT1J+PAD) + (0*LSPB) = 0
_ds_store_b32 v[vgprLocalWriteAddrB], v[vgprG2LB+1] offset:288 // lwoB_0_0_1_0 = (0*LSCB)*(MT1J+PAD) + (1*LSPB) = 288
_ds_store_b32 v[vgprLocalWriteAddrB], v[vgprG2LB+2] offset:576 // lwoB_0_0_2_0 = (0*LSCB)*(MT1J+PAD) + (2*LSPB) = 576
_ds_store_b32 v[vgprLocalWriteAddrB], v[vgprG2LB+3] offset:864 // lwoB_0_0_3_0 = (0*LSCB)*(MT1J+PAD) + (3*LSPB) = 864
_ds_store_b32 v[vgprLocalWriteAddrB], v[vgprG2LB+4] offset:1152 // lwoB_0_0_4_0 = (0*LSCB)*(MT1J+PAD) + (4*LSPB) = 1152
_ds_store_b32 v[vgprLocalWriteAddrB], v[vgprG2LB+5] offset:1440 // lwoB_0_0_5_0 = (0*LSCB)*(MT1J+PAD) + (5*LSPB) = 1440


/* local write swap a */

v_xor_b32 v[vgprLocalWriteAddrA+0], 0x4000, v[vgprLocalWriteAddrA+0] // swap Red Blk


/* local write swap b */

v_xor_b32 v[vgprLocalWriteAddrB+0], 0x4000, v[vgprLocalWriteAddrB+0] // swap Red Blk


	;; [unrolled: 1-line block ×3, first 2 shown]
s_cmp_eq_u32 s[sgprLoopCounterL] 0x1               // PGR=2 but only 1 loop
s_cbranch_scc1 label_0012                          // PGR=2 but only 1 loop


_buffer_load_b32 v[vgprG2LA+0], v[vgprGlobalReadOffsetA+0], s[sgprSrdA:sgprSrdA+3], 0, offen offset:0 // G -> Reg 0_0_0_0
_buffer_load_b32 v[vgprG2LA+1], v[vgprGlobalReadOffsetA+0], s[sgprSrdA:sgprSrdA+3], s[sgprScalarGlobalReadOffsetA+0], offen offset:0 // G -> Reg 0_0_1_0
_buffer_load_b32 v[vgprG2LA+2], v[vgprGlobalReadOffsetA+0], s[sgprSrdA:sgprSrdA+3], s[sgprScalarGlobalReadOffsetA+1], offen offset:0 // G -> Reg 0_0_2_0
_buffer_load_b32 v[vgprG2LA+3], v[vgprGlobalReadOffsetA+0], s[sgprSrdA:sgprSrdA+3], s[sgprScalarGlobalReadOffsetA+2], offen offset:0 // G -> Reg 0_0_3_0
_buffer_load_b32 v[vgprG2LA+4], v[vgprGlobalReadOffsetA+0], s[sgprSrdA:sgprSrdA+3], s[sgprScalarGlobalReadOffsetA+3], offen offset:0 // G -> Reg 0_0_4_0
_buffer_load_b32 v[vgprG2LA+5], v[vgprGlobalReadOffsetA+0], s[sgprSrdA:sgprSrdA+3], s[sgprScalarGlobalReadOffsetA+4], offen offset:0 // G -> Reg 0_0_5_0
_buffer_load_b32 v[vgprG2LA+6], v[vgprGlobalReadOffsetA+0], s[sgprSrdA:sgprSrdA+3], s[sgprScalarGlobalReadOffsetA+5], offen offset:0 // G -> Reg 0_0_6_0
_buffer_load_b32 v[vgprG2LA+7], v[vgprGlobalReadOffsetA+0], s[sgprSrdA:sgprSrdA+3], s[sgprScalarGlobalReadOffsetA+6], offen offset:0 // G -> Reg 0_0_7_0


_buffer_load_b32 v[vgprG2LB+0], v[vgprGlobalReadOffsetB+0], s[sgprSrdB:sgprSrdB+3], 0, offen offset:0 // G -> Reg 0_0_0_0
_buffer_load_b32 v[vgprG2LB+1], v[vgprGlobalReadOffsetB+0], s[sgprSrdB:sgprSrdB+3], s[sgprScalarGlobalReadOffsetB+0], offen offset:0 // G -> Reg 0_0_1_0
_buffer_load_b32 v[vgprG2LB+2], v[vgprGlobalReadOffsetB+0], s[sgprSrdB:sgprSrdB+3], s[sgprScalarGlobalReadOffsetB+1], offen offset:0 // G -> Reg 0_0_2_0
_buffer_load_b32 v[vgprG2LB+3], v[vgprGlobalReadOffsetB+0], s[sgprSrdB:sgprSrdB+3], s[sgprScalarGlobalReadOffsetB+2], offen offset:0 // G -> Reg 0_0_3_0
_buffer_load_b32 v[vgprG2LB+4], v[vgprGlobalReadOffsetB+0], s[sgprSrdB:sgprSrdB+3], s[sgprScalarGlobalReadOffsetB+3], offen offset:0 // G -> Reg 0_0_4_0
_buffer_load_b32 v[vgprG2LB+5], v[vgprGlobalReadOffsetB+0], s[sgprSrdB:sgprSrdB+3], s[sgprScalarGlobalReadOffsetB+4], offen offset:0 // G -> Reg 0_0_5_0

label_0012:                                        // 

s_waitcnt lgkmcnt(0)                               // lgkmcnt=0 vmcnt=-10prefetch wait for local write

// Skip force waitcnt0
s_barrier //


/* local read prefetch a */

_ds_load_b128 v[vgprValuA_X0_I0+0:vgprValuA_X0_I0+0+3], v[vgprLocalReadAddrA] offset:0 // L -> Reg lro=0 swapByteOffset=0 ti=128 vIdx=0 rIdx=0 oIdx=0 buffer=0 iui=0


/* local read prefetch b */

_ds_load_b128 v[vgprValuB_X0_I0+0:vgprValuB_X0_I0+0+3], v[vgprLocalReadAddrB] offset:0 // L -> Reg lro=0 swapByteOffset=0 ti=32 vIdx=0 rIdx=0 oIdx=0 buffer=0 iui=0
_ds_load_b128 v[vgprValuB_X0_I0+4:vgprValuB_X0_I0+4+3], v[vgprLocalReadAddrB] offset:2304 // L -> Reg lro=0 swapByteOffset=0 ti=32 vIdx=1 rIdx=0 oIdx=0 buffer=0 iui=0
	;; [unrolled: 1-line block ×3, first 2 shown]


/* local read inc a */

/* N/A, lro->32 */
/* self.localReadDoCntA 1 self.localReadDoCntB 1 */


/* local read inc b */

/* N/A, lro->32 */
/* self.localReadDoCntA 1 self.localReadDoCntB 1 */


	;; [unrolled: 1-line block ×3, first 2 shown]
/******************************************/
/* Unrolled Loop(s) - Begin               */
/******************************************/

openLoopL_13:
s_cmp_eq_u32 s[sgprLoopCounterL], 0x1              // LoopCounterL < EndCounter
s_cbranch_scc1 label_0014                          // PGR=2 but only 1 loop, toPGR1
s_cmp_le_u32 s[sgprLoopCounterL], 0x2              // LoopCounterL < EndCounter
s_cbranch_scc1 LoopEndL_2                          // do not enter LoopL
LoopBeginL_1:


/******************************************/
/* Unrolled Loop 1/1 - Begin              */
/******************************************/

label_0015: // LoopCopy1 


/* Begin Each Unroll: Check VGPR.checkin for INT8 LW */


	;; [unrolled: 1-line block ×3, first 2 shown]
/* iter 0 */

/*  grEndMfmaIndex:2, lwStartMfmaIndex:4, lwEndMfmaIndex:20  */
/*  numMfmaForLR:2, barrierMfmaIndex:21, LocalWritePerMfma:0.825 */
/*  mfmaIndex:0  */
s_waitcnt lgkmcnt(0)                               // lgkmcnt=0 vmcnt=-1wait for prior local read local write old=0, new=0 newLW=0 newLR=0
v_mfma_i32_32x32x8i8 a[0+0:15+0], v[vgprValuA_X0_I0+0+0+0], v[vgprValuB_X0_I0+0+0+0], a[0:15]
/*  mfmaIndex:1  */
_ds_load_b128 v[vgprValuA_X4_I0+0:vgprValuA_X4_I0+0+3], v[vgprLocalReadAddrA] offset:32 // L -> Reg lro=32 swapByteOffset=0 ti=128 vIdx=0 rIdx=0 oIdx=0 buffer=4 iui=0
_ds_load_b128 v[vgprValuB_X4_I0+0:vgprValuB_X4_I0+0+3], v[vgprLocalReadAddrB] offset:32 // L -> Reg lro=32 swapByteOffset=0 ti=32 vIdx=0 rIdx=0 oIdx=0 buffer=4 iui=0
_ds_load_b128 v[vgprValuB_X4_I0+4:vgprValuB_X4_I0+4+3], v[vgprLocalReadAddrB] offset:2336 // L -> Reg lro=32 swapByteOffset=0 ti=32 vIdx=1 rIdx=0 oIdx=0 buffer=4 iui=0

/* global read inc A loopL */
s_add_u32 s[sgprSrdA+0], s[sgprSrdA+0], s[sgprGlobalReadIncsA+0] // gra SRD += inc(lower)
s_addc_u32  s[sgprSrdA+1], s[sgprSrdA+1], 0        // gra SRD += inc(upper)
s_sub_u32 s[sgprShadowLimitA+0], s[sgprShadowLimitA+0], s[sgprGlobalReadIncsA+0] // limit -= inc)
s_subb_u32 s[sgprShadowLimitA+1], s[sgprShadowLimitA+1], 0 // limit -= inc)
s_cmp_eq_u32 s[sgprShadowLimitA+1], 0              // are we within 2^32?
s_cmov_b32 s[sgprSrdA+2], s[sgprShadowLimitA+0]    // Move shadow to real if we are within 2^32

/* global read inc B loopL */
s_add_u32 s[sgprSrdB+0], s[sgprSrdB+0], s[sgprGlobalReadIncsB+0] // gra SRD += inc(lower)
v_mfma_i32_32x32x8i8 a[16+0:31+0], v[vgprValuA_X0_I0+0+0+0], v[vgprValuB_X0_I0+4+0+0], a[16:31]
/*  mfmaIndex:2  */
_ds_load_b128 v[vgprValuB_X4_I0+8:vgprValuB_X4_I0+8+3], v[vgprLocalReadAddrB] offset:4640 // L -> Reg lro=32 swapByteOffset=0 ti=32 vIdx=2 rIdx=0 oIdx=0 buffer=4 iui=0
/* localReadsVacancy: latencyLeft 9 */
s_addc_u32  s[sgprSrdB+1], s[sgprSrdB+1], 0        // gra SRD += inc(upper)
s_sub_u32 s[sgprShadowLimitB+0], s[sgprShadowLimitB+0], s[sgprGlobalReadIncsB+0] // limit -= inc)
s_subb_u32 s[sgprShadowLimitB+1], s[sgprShadowLimitB+1], 0 // limit -= inc)
s_cmp_eq_u32 s[sgprShadowLimitB+1], 0              // are we within 2^32?
s_cmov_b32 s[sgprSrdB+2], s[sgprShadowLimitB+0]    // Move shadow to real if we are within 2^32
v_mfma_i32_32x32x8i8 a[32+0:47+0], v[vgprValuA_X0_I0+0+0+0], v[vgprValuB_X0_I0+8+0+0], a[32:47]
/* numPrefetchIter=0 */
/* dataAtIterA=-1 numReadsIterA=1 skipReadsIterA=1 readsPerIterA=1 */
/* dataAtIterB=-1 numReadsIterB=1 skipReadsIterB=1 readsPerIterB=3 */


/* iter 1 */

/*  grEndMfmaIndex:2, lwStartMfmaIndex:4, lwEndMfmaIndex:20  */
/*  numMfmaForLR:2, barrierMfmaIndex:21, LocalWritePerMfma:0.825 */
/*  mfmaIndex:3  */
/* localReadsVacancy: latencyLeft 13 */
s_waitcnt lgkmcnt(4)                               // lgkmcnt=0 vmcnt=-1wait for prior local read local write old=0, new=4 newLW=0 newLR=4
v_mfma_i32_32x32x8i8 a[0+0:15+0], v[vgprValuA_X0_I0+0+1+0], v[vgprValuB_X0_I0+0+1+0], a[0:15]
/*  mfmaIndex:4  */
/* localReadsVacancy: latencyLeft 9 */
/* sched write - iter 1 writesPerItem=1 */
s_waitcnt vmcnt(0)                                 // lgkmcnt=-1 vmcnt=0wait for global read before writing to local
_ds_store_b32 v[vgprLocalWriteAddrA], v[vgprG2LA+0] offset:0 // lwoA_0_0_0_0 = (0*LSCA)*(MT0I+PAD) + (0*LSPA) = 0
v_mfma_i32_32x32x8i8 a[16+0:31+0], v[vgprValuA_X0_I0+0+1+0], v[vgprValuB_X0_I0+4+1+0], a[16:31]
/*  mfmaIndex:5  */
/* localReadsVacancy: latencyLeft 9 */
_buffer_load_b32 v[vgprG2LA+0], v[vgprGlobalReadOffsetA+0], s[sgprSrdA:sgprSrdA+3], 0, offen offset:0 // G -> Reg 0_0_0_0
/* sched write - iter 1 writesPerItem=1 */
s_waitcnt vmcnt(0)                                 // lgkmcnt=-1 vmcnt=0wait for global read before writing to local
_ds_store_b32 v[vgprLocalWriteAddrA], v[vgprG2LA+1] offset:288 // lwoA_0_0_1_0 = (0*LSCA)*(MT0I+PAD) + (1*LSPA) = 288
v_mfma_i32_32x32x8i8 a[32+0:47+0], v[vgprValuA_X0_I0+0+1+0], v[vgprValuB_X0_I0+8+1+0], a[32:47]
/* numPrefetchIter=0 */
/* dataAtIterA=-1 numReadsIterA=1 skipReadsIterA=1 readsPerIterA=1 */
/* dataAtIterB=-1 numReadsIterB=1 skipReadsIterB=1 readsPerIterB=3 */


/* iter 2 */

/*  grEndMfmaIndex:2, lwStartMfmaIndex:4, lwEndMfmaIndex:20  */
/*  numMfmaForLR:2, barrierMfmaIndex:21, LocalWritePerMfma:0.825 */
/*  mfmaIndex:6  */
/* localReadsVacancy: latencyLeft 9 */
_buffer_load_b32 v[vgprG2LA+1], v[vgprGlobalReadOffsetA+0], s[sgprSrdA:sgprSrdA+3], s[sgprScalarGlobalReadOffsetA+0], offen offset:0 // G -> Reg 0_0_1_0
/* sched write - iter 2 writesPerItem=1 */
s_waitcnt vmcnt(0)                                 // lgkmcnt=-1 vmcnt=0wait for global read before writing to local
_ds_store_b32 v[vgprLocalWriteAddrA], v[vgprG2LA+2] offset:576 // lwoA_0_0_2_0 = (0*LSCA)*(MT0I+PAD) + (2*LSPA) = 576
s_waitcnt lgkmcnt(7)                               // lgkmcnt=0 vmcnt=-1wait for prior local read local write old=0, new=7 newLW=3 newLR=4
v_mfma_i32_32x32x8i8 a[0+0:15+0], v[vgprValuA_X0_I0+0+2+0], v[vgprValuB_X0_I0+0+2+0], a[0:15]
/*  mfmaIndex:7  */
/* localReadsVacancy: latencyLeft 9 */
_buffer_load_b32 v[vgprG2LA+2], v[vgprGlobalReadOffsetA+0], s[sgprSrdA:sgprSrdA+3], s[sgprScalarGlobalReadOffsetA+1], offen offset:0 // G -> Reg 0_0_2_0
/* sched write - iter 2 writesPerItem=1 */
s_waitcnt vmcnt(0)                                 // lgkmcnt=-1 vmcnt=0wait for global read before writing to local
_ds_store_b32 v[vgprLocalWriteAddrA], v[vgprG2LA+3] offset:864 // lwoA_0_0_3_0 = (0*LSCA)*(MT0I+PAD) + (3*LSPA) = 864
v_mfma_i32_32x32x8i8 a[16+0:31+0], v[vgprValuA_X0_I0+0+2+0], v[vgprValuB_X0_I0+4+2+0], a[16:31]
/*  mfmaIndex:8  */
/* localReadsVacancy: latencyLeft 9 */
_buffer_load_b32 v[vgprG2LA+3], v[vgprGlobalReadOffsetA+0], s[sgprSrdA:sgprSrdA+3], s[sgprScalarGlobalReadOffsetA+2], offen offset:0 // G -> Reg 0_0_3_0
/* sched write - iter 2 writesPerItem=1 */
s_waitcnt vmcnt(0)                                 // lgkmcnt=-1 vmcnt=0wait for global read before writing to local
_ds_store_b32 v[vgprLocalWriteAddrA], v[vgprG2LA+4] offset:1152 // lwoA_0_0_4_0 = (0*LSCA)*(MT0I+PAD) + (4*LSPA) = 1152
v_mfma_i32_32x32x8i8 a[32+0:47+0], v[vgprValuA_X0_I0+0+2+0], v[vgprValuB_X0_I0+8+2+0], a[32:47]
/* numPrefetchIter=0 */
/* dataAtIterA=-1 numReadsIterA=1 skipReadsIterA=1 readsPerIterA=1 */
/* dataAtIterB=-1 numReadsIterB=1 skipReadsIterB=1 readsPerIterB=3 */


/* iter 3 */

/*  grEndMfmaIndex:2, lwStartMfmaIndex:4, lwEndMfmaIndex:20  */
/*  numMfmaForLR:2, barrierMfmaIndex:21, LocalWritePerMfma:0.825 */
/*  mfmaIndex:9  */
/* localReadsVacancy: latencyLeft 13 */
_buffer_load_b32 v[vgprG2LA+4], v[vgprGlobalReadOffsetA+0], s[sgprSrdA:sgprSrdA+3], s[sgprScalarGlobalReadOffsetA+3], offen offset:0 // G -> Reg 0_0_4_0
s_waitcnt lgkmcnt(9)                               // lgkmcnt=0 vmcnt=-1wait for prior local read local write old=0, new=9 newLW=5 newLR=4
v_mfma_i32_32x32x8i8 a[0+0:15+0], v[vgprValuA_X0_I0+0+3+0], v[vgprValuB_X0_I0+0+3+0], a[0:15]
/*  mfmaIndex:10  */
/* localReadsVacancy: latencyLeft 9 */
/* sched write - iter 3 writesPerItem=1 */
s_waitcnt vmcnt(0)                                 // lgkmcnt=-1 vmcnt=0wait for global read before writing to local
_ds_store_b32 v[vgprLocalWriteAddrA], v[vgprG2LA+5] offset:1440 // lwoA_0_0_5_0 = (0*LSCA)*(MT0I+PAD) + (5*LSPA) = 1440
v_mfma_i32_32x32x8i8 a[16+0:31+0], v[vgprValuA_X0_I0+0+3+0], v[vgprValuB_X0_I0+4+3+0], a[16:31]
/*  mfmaIndex:11  */
/* localReadsVacancy: latencyLeft 9 */
_buffer_load_b32 v[vgprG2LA+5], v[vgprGlobalReadOffsetA+0], s[sgprSrdA:sgprSrdA+3], s[sgprScalarGlobalReadOffsetA+4], offen offset:0 // G -> Reg 0_0_5_0
/* sched write - iter 3 writesPerItem=1 */
s_waitcnt vmcnt(0)                                 // lgkmcnt=-1 vmcnt=0wait for global read before writing to local
_ds_store_b32 v[vgprLocalWriteAddrA], v[vgprG2LA+6] offset:1728 // lwoA_0_0_6_0 = (0*LSCA)*(MT0I+PAD) + (6*LSPA) = 1728
v_mfma_i32_32x32x8i8 a[32+0:47+0], v[vgprValuA_X0_I0+0+3+0], v[vgprValuB_X0_I0+8+3+0], a[32:47]
/* numPrefetchIter=0 */
/* dataAtIterA=-1 numReadsIterA=1 skipReadsIterA=1 readsPerIterA=1 */
/* dataAtIterB=-1 numReadsIterB=1 skipReadsIterB=1 readsPerIterB=3 */


/* iter 4 */

/*  grEndMfmaIndex:2, lwStartMfmaIndex:4, lwEndMfmaIndex:20  */
/*  numMfmaForLR:2, barrierMfmaIndex:21, LocalWritePerMfma:0.825 */
/*  mfmaIndex:12  */
/* localReadsVacancy: latencyLeft 9 */
_buffer_load_b32 v[vgprG2LA+6], v[vgprGlobalReadOffsetA+0], s[sgprSrdA:sgprSrdA+3], s[sgprScalarGlobalReadOffsetA+5], offen offset:0 // G -> Reg 0_0_6_0
/* sched write - iter 4 writesPerItem=1 */
s_waitcnt vmcnt(0)                                 // lgkmcnt=-1 vmcnt=0wait for global read before writing to local
_ds_store_b32 v[vgprLocalWriteAddrA], v[vgprG2LA+7] offset:2016 // lwoA_0_0_7_0 = (0*LSCA)*(MT0I+PAD) + (7*LSPA) = 2016
s_waitcnt lgkmcnt(8)                               // lgkmcnt=0 vmcnt=-1wait for prior local read local write old=0, new=8 newLW=8 newLR=0
v_mfma_i32_32x32x8i8 a[0+0:15+0], v[vgprValuA_X4_I0+0+0+0], v[vgprValuB_X4_I0+0+0+0], a[0:15]
/*  mfmaIndex:13  */
/* localReadsVacancy: latencyLeft 9 */
_buffer_load_b32 v[vgprG2LA+7], v[vgprGlobalReadOffsetA+0], s[sgprSrdA:sgprSrdA+3], s[sgprScalarGlobalReadOffsetA+6], offen offset:0 // G -> Reg 0_0_7_0
/* sched write - iter 4 writesPerItem=1 */
s_waitcnt vmcnt(0)                                 // lgkmcnt=-1 vmcnt=0wait for global read before writing to local
_ds_store_b32 v[vgprLocalWriteAddrB], v[vgprG2LB+0] offset:0 // lwoB_0_0_0_0 = (0*LSCB)*(MT1J+PAD) + (0*LSPB) = 0
v_mfma_i32_32x32x8i8 a[16+0:31+0], v[vgprValuA_X4_I0+0+0+0], v[vgprValuB_X4_I0+4+0+0], a[16:31]
/*  mfmaIndex:14  */
/* localReadsVacancy: latencyLeft 9 */
_buffer_load_b32 v[vgprG2LB+0], v[vgprGlobalReadOffsetB+0], s[sgprSrdB:sgprSrdB+3], 0, offen offset:0 // G -> Reg 0_0_0_0
/* sched write - iter 4 writesPerItem=1 */
s_waitcnt vmcnt(0)                                 // lgkmcnt=-1 vmcnt=0wait for global read before writing to local
_ds_store_b32 v[vgprLocalWriteAddrB], v[vgprG2LB+1] offset:288 // lwoB_0_0_1_0 = (0*LSCB)*(MT1J+PAD) + (1*LSPB) = 288
v_mfma_i32_32x32x8i8 a[32+0:47+0], v[vgprValuA_X4_I0+0+0+0], v[vgprValuB_X4_I0+8+0+0], a[32:47]
/* numPrefetchIter=0 */
/* dataAtIterA=0 numReadsIterA=1 skipReadsIterA=0 readsPerIterA=1 */
/* dataAtIterB=0 numReadsIterB=1 skipReadsIterB=0 readsPerIterB=3 */


/* iter 5 */

/*  grEndMfmaIndex:2, lwStartMfmaIndex:4, lwEndMfmaIndex:20  */
/*  numMfmaForLR:2, barrierMfmaIndex:21, LocalWritePerMfma:0.825 */
/*  mfmaIndex:15  */
/* localReadsVacancy: latencyLeft 13 */
_buffer_load_b32 v[vgprG2LB+1], v[vgprGlobalReadOffsetB+0], s[sgprSrdB:sgprSrdB+3], s[sgprScalarGlobalReadOffsetB+0], offen offset:0 // G -> Reg 0_0_1_0
s_waitcnt lgkmcnt(10)                              // lgkmcnt=0 vmcnt=-1wait for prior local read local write old=0, new=10 newLW=10 newLR=0
v_mfma_i32_32x32x8i8 a[0+0:15+0], v[vgprValuA_X4_I0+0+1+0], v[vgprValuB_X4_I0+0+1+0], a[0:15]
/*  mfmaIndex:16  */
/* localReadsVacancy: latencyLeft 9 */
/* sched write - iter 5 writesPerItem=1 */
s_waitcnt vmcnt(0)                                 // lgkmcnt=-1 vmcnt=0wait for global read before writing to local
_ds_store_b32 v[vgprLocalWriteAddrB], v[vgprG2LB+2] offset:576 // lwoB_0_0_2_0 = (0*LSCB)*(MT1J+PAD) + (2*LSPB) = 576
v_mfma_i32_32x32x8i8 a[16+0:31+0], v[vgprValuA_X4_I0+0+1+0], v[vgprValuB_X4_I0+4+1+0], a[16:31]
/*  mfmaIndex:17  */
/* localReadsVacancy: latencyLeft 9 */
_buffer_load_b32 v[vgprG2LB+2], v[vgprGlobalReadOffsetB+0], s[sgprSrdB:sgprSrdB+3], s[sgprScalarGlobalReadOffsetB+1], offen offset:0 // G -> Reg 0_0_2_0
/* sched write - iter 5 writesPerItem=1 */
s_waitcnt vmcnt(0)                                 // lgkmcnt=-1 vmcnt=0wait for global read before writing to local
_ds_store_b32 v[vgprLocalWriteAddrB], v[vgprG2LB+3] offset:864 // lwoB_0_0_3_0 = (0*LSCB)*(MT1J+PAD) + (3*LSPB) = 864
v_mfma_i32_32x32x8i8 a[32+0:47+0], v[vgprValuA_X4_I0+0+1+0], v[vgprValuB_X4_I0+8+1+0], a[32:47]
/* numPrefetchIter=0 */
/* dataAtIterA=0 numReadsIterA=1 skipReadsIterA=0 readsPerIterA=1 */
/* dataAtIterB=0 numReadsIterB=1 skipReadsIterB=0 readsPerIterB=3 */


/* iter 6 (reset local read pointers iteration)  (swap and reset local write pointers iteration)  (swap local read pointers iteration)  */

/*  grEndMfmaIndex:2, lwStartMfmaIndex:4, lwEndMfmaIndex:20  */
/*  numMfmaForLR:2, barrierMfmaIndex:21, LocalWritePerMfma:0.825 */
/*  mfmaIndex:18  */
/* localReadsVacancy: latencyLeft 9 */
_buffer_load_b32 v[vgprG2LB+3], v[vgprGlobalReadOffsetB+0], s[sgprSrdB:sgprSrdB+3], s[sgprScalarGlobalReadOffsetB+2], offen offset:0 // G -> Reg 0_0_3_0
/* sched write - iter 6 writesPerItem=1 */
s_waitcnt vmcnt(0)                                 // lgkmcnt=-1 vmcnt=0wait for global read before writing to local
_ds_store_b32 v[vgprLocalWriteAddrB], v[vgprG2LB+4] offset:1152 // lwoB_0_0_4_0 = (0*LSCB)*(MT1J+PAD) + (4*LSPB) = 1152
s_waitcnt lgkmcnt(13)                              // lgkmcnt=0 vmcnt=-1wait for prior local read local write old=0, new=13 newLW=13 newLR=0
v_mfma_i32_32x32x8i8 a[0+0:15+0], v[vgprValuA_X4_I0+0+2+0], v[vgprValuB_X4_I0+0+2+0], a[0:15]
/*  mfmaIndex:19  */
/* localReadsVacancy: latencyLeft 9 */
_buffer_load_b32 v[vgprG2LB+4], v[vgprGlobalReadOffsetB+0], s[sgprSrdB:sgprSrdB+3], s[sgprScalarGlobalReadOffsetB+3], offen offset:0 // G -> Reg 0_0_4_0
/* sched write - iter 6 writesPerItem=1 */
s_waitcnt vmcnt(0)                                 // lgkmcnt=-1 vmcnt=0wait for global read before writing to local
_ds_store_b32 v[vgprLocalWriteAddrB], v[vgprG2LB+5] offset:1440 // lwoB_0_0_5_0 = (0*LSCB)*(MT1J+PAD) + (5*LSPB) = 1440
v_mfma_i32_32x32x8i8 a[16+0:31+0], v[vgprValuA_X4_I0+0+2+0], v[vgprValuB_X4_I0+4+2+0], a[16:31]
/*  mfmaIndex:20  */
/* localReadsVacancy: latencyLeft 13 */
_buffer_load_b32 v[vgprG2LB+5], v[vgprGlobalReadOffsetB+0], s[sgprSrdB:sgprSrdB+3], s[sgprScalarGlobalReadOffsetB+4], offen offset:0 // G -> Reg 0_0_5_0

/* local write swap offsets a */
v_xor_b32 v[vgprLocalWriteAddrA+0], 0x4000, v[vgprLocalWriteAddrA+0] // swap Red Blk

/* local write swap offsets b */
v_xor_b32 v[vgprLocalWriteAddrB+0], 0x4000, v[vgprLocalWriteAddrB+0] // swap Red Blk

/* local read swap offsets a */
v_xor_b32 v[vgprLocalReadAddrA], 0x4000, v[vgprLocalReadAddrA] // swap Red Blk

/* local read swap offsets b */
v_xor_b32 v[vgprLocalReadAddrB], 0x4000, v[vgprLocalReadAddrB] // swap Red Blk

/* local read init pointers a */

/* localReadInitPointers */

/* local read init pointers b */

/* localReadInitPointers */
v_mfma_i32_32x32x8i8 a[32+0:47+0], v[vgprValuA_X4_I0+0+2+0], v[vgprValuB_X4_I0+8+2+0], a[32:47]
/* numPrefetchIter=0 */
/* dataAtIterA=0 numReadsIterA=1 skipReadsIterA=0 readsPerIterA=1 */
/* dataAtIterB=0 numReadsIterB=1 skipReadsIterB=0 readsPerIterB=3 */


/* iter 7 */

/*  grEndMfmaIndex:2, lwStartMfmaIndex:4, lwEndMfmaIndex:20  */
/*  numMfmaForLR:2, barrierMfmaIndex:21, LocalWritePerMfma:0.825 */
/*  mfmaIndex:21  */
s_waitcnt lgkmcnt(0)                               // lgkmcnt=0 vmcnt=-13wait for local write
// Skip force waitcnt0
s_barrier //
s_waitcnt lgkmcnt(14)                              // lgkmcnt=0 vmcnt=-1wait for prior local read local write old=0, new=14 newLW=14 newLR=0
v_mfma_i32_32x32x8i8 a[0+0:15+0], v[vgprValuA_X4_I0+0+3+0], v[vgprValuB_X4_I0+0+3+0], a[0:15]
/*  mfmaIndex:22  */
_ds_load_b128 v[vgprValuA_X0_I0+0:vgprValuA_X0_I0+0+3], v[vgprLocalReadAddrA] offset:0 // L -> Reg lro=0 swapByteOffset=0 ti=128 vIdx=0 rIdx=0 oIdx=0 buffer=0 iui=0
_ds_load_b128 v[vgprValuB_X0_I0+0:vgprValuB_X0_I0+0+3], v[vgprLocalReadAddrB] offset:0 // L -> Reg lro=0 swapByteOffset=0 ti=32 vIdx=0 rIdx=0 oIdx=0 buffer=0 iui=0
_ds_load_b128 v[vgprValuB_X0_I0+4:vgprValuB_X0_I0+4+3], v[vgprLocalReadAddrB] offset:2304 // L -> Reg lro=0 swapByteOffset=0 ti=32 vIdx=1 rIdx=0 oIdx=0 buffer=0 iui=0
v_mfma_i32_32x32x8i8 a[16+0:31+0], v[vgprValuA_X4_I0+0+3+0], v[vgprValuB_X4_I0+4+3+0], a[16:31]
/*  mfmaIndex:23  */
_ds_load_b128 v[vgprValuB_X0_I0+8:vgprValuB_X0_I0+8+3], v[vgprLocalReadAddrB] offset:4608 // L -> Reg lro=0 swapByteOffset=0 ti=32 vIdx=2 rIdx=0 oIdx=0 buffer=0 iui=0
v_mfma_i32_32x32x8i8 a[32+0:47+0], v[vgprValuA_X4_I0+0+3+0], v[vgprValuB_X4_I0+8+3+0], a[32:47]
/* numPrefetchIter=1 */
/* dataAtIterA=0 numReadsIterA=1 skipReadsIterA=1 readsPerIterA=1 */
/* dataAtIterB=0 numReadsIterB=1 skipReadsIterB=1 readsPerIterB=3 */


/******************************************/
/* Unrolled Loop - End                    */
/******************************************/


/* closeLoop loopL finalLoop=1 tailLoop=0 */
s_sub_u32 s[sgprLoopCounterL], s[sgprLoopCounterL], 1 // dec counterL
s_cmp_eq_i32 s[sgprLoopCounterL], 0x2              // counterL==2
s_cbranch_scc0 LoopBeginL_1                        // restart LoopL
LoopEndL_2:


/* Before NLL: Check VGPR.checkin for INT8 LW */


/******************************************/
/* Ord. NoGlobalLoadLoop - Begin                                      */
/******************************************/



/* iter 0 */

/*  grEndMfmaIndex:2, lwStartMfmaIndex:4, lwEndMfmaIndex:20  */
/*  numMfmaForLR:2, barrierMfmaIndex:21, LocalWritePerMfma:0.825 */
/*  mfmaIndex:0  */
s_waitcnt lgkmcnt(0)                               // lgkmcnt=0 vmcnt=-1wait for prior local read local write old=0, new=0 newLW=0 newLR=0
v_mfma_i32_32x32x8i8 a[0+0:15+0], v[vgprValuA_X0_I0+0+0+0], v[vgprValuB_X0_I0+0+0+0], a[0:15]
/*  mfmaIndex:1  */
_ds_load_b128 v[vgprValuA_X4_I0+0:vgprValuA_X4_I0+0+3], v[vgprLocalReadAddrA] offset:32 // L -> Reg lro=32 swapByteOffset=0 ti=128 vIdx=0 rIdx=0 oIdx=0 buffer=4 iui=0
_ds_load_b128 v[vgprValuB_X4_I0+0:vgprValuB_X4_I0+0+3], v[vgprLocalReadAddrB] offset:32 // L -> Reg lro=32 swapByteOffset=0 ti=32 vIdx=0 rIdx=0 oIdx=0 buffer=4 iui=0
_ds_load_b128 v[vgprValuB_X4_I0+4:vgprValuB_X4_I0+4+3], v[vgprLocalReadAddrB] offset:2336 // L -> Reg lro=32 swapByteOffset=0 ti=32 vIdx=1 rIdx=0 oIdx=0 buffer=4 iui=0

/* global read inc A loopL */
s_add_u32 s[sgprSrdA+0], s[sgprSrdA+0], s[sgprGlobalReadIncsA+0] // gra SRD += inc(lower)
s_addc_u32  s[sgprSrdA+1], s[sgprSrdA+1], 0        // gra SRD += inc(upper)
s_sub_u32 s[sgprShadowLimitA+0], s[sgprShadowLimitA+0], s[sgprGlobalReadIncsA+0] // limit -= inc)
s_subb_u32 s[sgprShadowLimitA+1], s[sgprShadowLimitA+1], 0 // limit -= inc)
s_cmp_eq_u32 s[sgprShadowLimitA+1], 0              // are we within 2^32?
s_cmov_b32 s[sgprSrdA+2], s[sgprShadowLimitA+0]    // Move shadow to real if we are within 2^32

/* global read inc B loopL */
s_add_u32 s[sgprSrdB+0], s[sgprSrdB+0], s[sgprGlobalReadIncsB+0] // gra SRD += inc(lower)
v_mfma_i32_32x32x8i8 a[16+0:31+0], v[vgprValuA_X0_I0+0+0+0], v[vgprValuB_X0_I0+4+0+0], a[16:31]
/*  mfmaIndex:2  */
_ds_load_b128 v[vgprValuB_X4_I0+8:vgprValuB_X4_I0+8+3], v[vgprLocalReadAddrB] offset:4640 // L -> Reg lro=32 swapByteOffset=0 ti=32 vIdx=2 rIdx=0 oIdx=0 buffer=4 iui=0
/* localReadsVacancy: latencyLeft 9 */
s_addc_u32  s[sgprSrdB+1], s[sgprSrdB+1], 0        // gra SRD += inc(upper)
s_sub_u32 s[sgprShadowLimitB+0], s[sgprShadowLimitB+0], s[sgprGlobalReadIncsB+0] // limit -= inc)
s_subb_u32 s[sgprShadowLimitB+1], s[sgprShadowLimitB+1], 0 // limit -= inc)
s_cmp_eq_u32 s[sgprShadowLimitB+1], 0              // are we within 2^32?
s_cmov_b32 s[sgprSrdB+2], s[sgprShadowLimitB+0]    // Move shadow to real if we are within 2^32
v_mfma_i32_32x32x8i8 a[32+0:47+0], v[vgprValuA_X0_I0+0+0+0], v[vgprValuB_X0_I0+8+0+0], a[32:47]
/* numPrefetchIter=0 */
/* dataAtIterA=-1 numReadsIterA=1 skipReadsIterA=1 readsPerIterA=1 */
/* dataAtIterB=-1 numReadsIterB=1 skipReadsIterB=1 readsPerIterB=3 */


/* iter 1 */

/*  grEndMfmaIndex:2, lwStartMfmaIndex:4, lwEndMfmaIndex:20  */
/*  numMfmaForLR:2, barrierMfmaIndex:21, LocalWritePerMfma:0.825 */
/*  mfmaIndex:3  */
/* localReadsVacancy: latencyLeft 13 */
s_waitcnt lgkmcnt(4)                               // lgkmcnt=0 vmcnt=-1wait for prior local read local write old=0, new=4 newLW=0 newLR=4
v_mfma_i32_32x32x8i8 a[0+0:15+0], v[vgprValuA_X0_I0+0+1+0], v[vgprValuB_X0_I0+0+1+0], a[0:15]
/*  mfmaIndex:4  */
/* localReadsVacancy: latencyLeft 9 */
/* sched write - iter 1 writesPerItem=1 */
s_waitcnt vmcnt(0)                                 // lgkmcnt=-1 vmcnt=0wait for global read before writing to local
_ds_store_b32 v[vgprLocalWriteAddrA], v[vgprG2LA+0] offset:0 // lwoA_0_0_0_0 = (0*LSCA)*(MT0I+PAD) + (0*LSPA) = 0
v_mfma_i32_32x32x8i8 a[16+0:31+0], v[vgprValuA_X0_I0+0+1+0], v[vgprValuB_X0_I0+4+1+0], a[16:31]
/*  mfmaIndex:5  */
/* localReadsVacancy: latencyLeft 9 */
/* sched write - iter 1 writesPerItem=1 */
s_waitcnt vmcnt(0)                                 // lgkmcnt=-1 vmcnt=0wait for global read before writing to local
_ds_store_b32 v[vgprLocalWriteAddrA], v[vgprG2LA+1] offset:288 // lwoA_0_0_1_0 = (0*LSCA)*(MT0I+PAD) + (1*LSPA) = 288
v_mfma_i32_32x32x8i8 a[32+0:47+0], v[vgprValuA_X0_I0+0+1+0], v[vgprValuB_X0_I0+8+1+0], a[32:47]
/* numPrefetchIter=0 */
/* dataAtIterA=-1 numReadsIterA=1 skipReadsIterA=1 readsPerIterA=1 */
/* dataAtIterB=-1 numReadsIterB=1 skipReadsIterB=1 readsPerIterB=3 */


/* iter 2 */

/*  grEndMfmaIndex:2, lwStartMfmaIndex:4, lwEndMfmaIndex:20  */
/*  numMfmaForLR:2, barrierMfmaIndex:21, LocalWritePerMfma:0.825 */
/*  mfmaIndex:6  */
/* localReadsVacancy: latencyLeft 9 */
/* sched write - iter 2 writesPerItem=1 */
s_waitcnt vmcnt(0)                                 // lgkmcnt=-1 vmcnt=0wait for global read before writing to local
_ds_store_b32 v[vgprLocalWriteAddrA], v[vgprG2LA+2] offset:576 // lwoA_0_0_2_0 = (0*LSCA)*(MT0I+PAD) + (2*LSPA) = 576
s_waitcnt lgkmcnt(7)                               // lgkmcnt=0 vmcnt=-1wait for prior local read local write old=0, new=7 newLW=3 newLR=4
v_mfma_i32_32x32x8i8 a[0+0:15+0], v[vgprValuA_X0_I0+0+2+0], v[vgprValuB_X0_I0+0+2+0], a[0:15]
/*  mfmaIndex:7  */
/* localReadsVacancy: latencyLeft 9 */
/* sched write - iter 2 writesPerItem=1 */
s_waitcnt vmcnt(0)                                 // lgkmcnt=-1 vmcnt=0wait for global read before writing to local
_ds_store_b32 v[vgprLocalWriteAddrA], v[vgprG2LA+3] offset:864 // lwoA_0_0_3_0 = (0*LSCA)*(MT0I+PAD) + (3*LSPA) = 864
v_mfma_i32_32x32x8i8 a[16+0:31+0], v[vgprValuA_X0_I0+0+2+0], v[vgprValuB_X0_I0+4+2+0], a[16:31]
/*  mfmaIndex:8  */
/* localReadsVacancy: latencyLeft 9 */
/* sched write - iter 2 writesPerItem=1 */
s_waitcnt vmcnt(0)                                 // lgkmcnt=-1 vmcnt=0wait for global read before writing to local
_ds_store_b32 v[vgprLocalWriteAddrA], v[vgprG2LA+4] offset:1152 // lwoA_0_0_4_0 = (0*LSCA)*(MT0I+PAD) + (4*LSPA) = 1152
v_mfma_i32_32x32x8i8 a[32+0:47+0], v[vgprValuA_X0_I0+0+2+0], v[vgprValuB_X0_I0+8+2+0], a[32:47]
/* numPrefetchIter=0 */
/* dataAtIterA=-1 numReadsIterA=1 skipReadsIterA=1 readsPerIterA=1 */
/* dataAtIterB=-1 numReadsIterB=1 skipReadsIterB=1 readsPerIterB=3 */


/* iter 3 */

/*  grEndMfmaIndex:2, lwStartMfmaIndex:4, lwEndMfmaIndex:20  */
/*  numMfmaForLR:2, barrierMfmaIndex:21, LocalWritePerMfma:0.825 */
/*  mfmaIndex:9  */
/* localReadsVacancy: latencyLeft 13 */
s_waitcnt lgkmcnt(9)                               // lgkmcnt=0 vmcnt=-1wait for prior local read local write old=0, new=9 newLW=5 newLR=4
v_mfma_i32_32x32x8i8 a[0+0:15+0], v[vgprValuA_X0_I0+0+3+0], v[vgprValuB_X0_I0+0+3+0], a[0:15]
/*  mfmaIndex:10  */
/* localReadsVacancy: latencyLeft 9 */
/* sched write - iter 3 writesPerItem=1 */
s_waitcnt vmcnt(0)                                 // lgkmcnt=-1 vmcnt=0wait for global read before writing to local
_ds_store_b32 v[vgprLocalWriteAddrA], v[vgprG2LA+5] offset:1440 // lwoA_0_0_5_0 = (0*LSCA)*(MT0I+PAD) + (5*LSPA) = 1440
v_mfma_i32_32x32x8i8 a[16+0:31+0], v[vgprValuA_X0_I0+0+3+0], v[vgprValuB_X0_I0+4+3+0], a[16:31]
/*  mfmaIndex:11  */
/* localReadsVacancy: latencyLeft 9 */
/* sched write - iter 3 writesPerItem=1 */
s_waitcnt vmcnt(0)                                 // lgkmcnt=-1 vmcnt=0wait for global read before writing to local
_ds_store_b32 v[vgprLocalWriteAddrA], v[vgprG2LA+6] offset:1728 // lwoA_0_0_6_0 = (0*LSCA)*(MT0I+PAD) + (6*LSPA) = 1728
v_mfma_i32_32x32x8i8 a[32+0:47+0], v[vgprValuA_X0_I0+0+3+0], v[vgprValuB_X0_I0+8+3+0], a[32:47]
/* numPrefetchIter=0 */
/* dataAtIterA=-1 numReadsIterA=1 skipReadsIterA=1 readsPerIterA=1 */
/* dataAtIterB=-1 numReadsIterB=1 skipReadsIterB=1 readsPerIterB=3 */


/* iter 4 */

/*  grEndMfmaIndex:2, lwStartMfmaIndex:4, lwEndMfmaIndex:20  */
/*  numMfmaForLR:2, barrierMfmaIndex:21, LocalWritePerMfma:0.825 */
/*  mfmaIndex:12  */
/* localReadsVacancy: latencyLeft 9 */
/* sched write - iter 4 writesPerItem=1 */
s_waitcnt vmcnt(0)                                 // lgkmcnt=-1 vmcnt=0wait for global read before writing to local
_ds_store_b32 v[vgprLocalWriteAddrA], v[vgprG2LA+7] offset:2016 // lwoA_0_0_7_0 = (0*LSCA)*(MT0I+PAD) + (7*LSPA) = 2016
s_waitcnt lgkmcnt(8)                               // lgkmcnt=0 vmcnt=-1wait for prior local read local write old=0, new=8 newLW=8 newLR=0
v_mfma_i32_32x32x8i8 a[0+0:15+0], v[vgprValuA_X4_I0+0+0+0], v[vgprValuB_X4_I0+0+0+0], a[0:15]
/*  mfmaIndex:13  */
/* localReadsVacancy: latencyLeft 9 */
/* sched write - iter 4 writesPerItem=1 */
s_waitcnt vmcnt(0)                                 // lgkmcnt=-1 vmcnt=0wait for global read before writing to local
_ds_store_b32 v[vgprLocalWriteAddrB], v[vgprG2LB+0] offset:0 // lwoB_0_0_0_0 = (0*LSCB)*(MT1J+PAD) + (0*LSPB) = 0
v_mfma_i32_32x32x8i8 a[16+0:31+0], v[vgprValuA_X4_I0+0+0+0], v[vgprValuB_X4_I0+4+0+0], a[16:31]
/*  mfmaIndex:14  */
/* localReadsVacancy: latencyLeft 9 */
/* sched write - iter 4 writesPerItem=1 */
s_waitcnt vmcnt(0)                                 // lgkmcnt=-1 vmcnt=0wait for global read before writing to local
_ds_store_b32 v[vgprLocalWriteAddrB], v[vgprG2LB+1] offset:288 // lwoB_0_0_1_0 = (0*LSCB)*(MT1J+PAD) + (1*LSPB) = 288
v_mfma_i32_32x32x8i8 a[32+0:47+0], v[vgprValuA_X4_I0+0+0+0], v[vgprValuB_X4_I0+8+0+0], a[32:47]
/* numPrefetchIter=0 */
/* dataAtIterA=0 numReadsIterA=1 skipReadsIterA=0 readsPerIterA=1 */
/* dataAtIterB=0 numReadsIterB=1 skipReadsIterB=0 readsPerIterB=3 */


/* iter 5 */

/*  grEndMfmaIndex:2, lwStartMfmaIndex:4, lwEndMfmaIndex:20  */
/*  numMfmaForLR:2, barrierMfmaIndex:21, LocalWritePerMfma:0.825 */
/*  mfmaIndex:15  */
/* localReadsVacancy: latencyLeft 13 */
s_waitcnt lgkmcnt(10)                              // lgkmcnt=0 vmcnt=-1wait for prior local read local write old=0, new=10 newLW=10 newLR=0
v_mfma_i32_32x32x8i8 a[0+0:15+0], v[vgprValuA_X4_I0+0+1+0], v[vgprValuB_X4_I0+0+1+0], a[0:15]
/*  mfmaIndex:16  */
/* localReadsVacancy: latencyLeft 9 */
/* sched write - iter 5 writesPerItem=1 */
s_waitcnt vmcnt(0)                                 // lgkmcnt=-1 vmcnt=0wait for global read before writing to local
_ds_store_b32 v[vgprLocalWriteAddrB], v[vgprG2LB+2] offset:576 // lwoB_0_0_2_0 = (0*LSCB)*(MT1J+PAD) + (2*LSPB) = 576
v_mfma_i32_32x32x8i8 a[16+0:31+0], v[vgprValuA_X4_I0+0+1+0], v[vgprValuB_X4_I0+4+1+0], a[16:31]
/*  mfmaIndex:17  */
/* localReadsVacancy: latencyLeft 9 */
/* sched write - iter 5 writesPerItem=1 */
s_waitcnt vmcnt(0)                                 // lgkmcnt=-1 vmcnt=0wait for global read before writing to local
_ds_store_b32 v[vgprLocalWriteAddrB], v[vgprG2LB+3] offset:864 // lwoB_0_0_3_0 = (0*LSCB)*(MT1J+PAD) + (3*LSPB) = 864
v_mfma_i32_32x32x8i8 a[32+0:47+0], v[vgprValuA_X4_I0+0+1+0], v[vgprValuB_X4_I0+8+1+0], a[32:47]
/* numPrefetchIter=0 */
/* dataAtIterA=0 numReadsIterA=1 skipReadsIterA=0 readsPerIterA=1 */
/* dataAtIterB=0 numReadsIterB=1 skipReadsIterB=0 readsPerIterB=3 */


/* iter 6 (reset local read pointers iteration)  (swap and reset local write pointers iteration)  (swap local read pointers iteration)  */

/*  grEndMfmaIndex:2, lwStartMfmaIndex:4, lwEndMfmaIndex:20  */
/*  numMfmaForLR:2, barrierMfmaIndex:21, LocalWritePerMfma:0.825 */
/*  mfmaIndex:18  */
/* localReadsVacancy: latencyLeft 9 */
/* sched write - iter 6 writesPerItem=1 */
s_waitcnt vmcnt(0)                                 // lgkmcnt=-1 vmcnt=0wait for global read before writing to local
_ds_store_b32 v[vgprLocalWriteAddrB], v[vgprG2LB+4] offset:1152 // lwoB_0_0_4_0 = (0*LSCB)*(MT1J+PAD) + (4*LSPB) = 1152
s_waitcnt lgkmcnt(13)                              // lgkmcnt=0 vmcnt=-1wait for prior local read local write old=0, new=13 newLW=13 newLR=0
v_mfma_i32_32x32x8i8 a[0+0:15+0], v[vgprValuA_X4_I0+0+2+0], v[vgprValuB_X4_I0+0+2+0], a[0:15]
/*  mfmaIndex:19  */
/* localReadsVacancy: latencyLeft 9 */
/* sched write - iter 6 writesPerItem=1 */
s_waitcnt vmcnt(0)                                 // lgkmcnt=-1 vmcnt=0wait for global read before writing to local
_ds_store_b32 v[vgprLocalWriteAddrB], v[vgprG2LB+5] offset:1440 // lwoB_0_0_5_0 = (0*LSCB)*(MT1J+PAD) + (5*LSPB) = 1440
v_mfma_i32_32x32x8i8 a[16+0:31+0], v[vgprValuA_X4_I0+0+2+0], v[vgprValuB_X4_I0+4+2+0], a[16:31]
/*  mfmaIndex:20  */
/* localReadsVacancy: latencyLeft 13 */

/* local write swap offsets a */
v_xor_b32 v[vgprLocalWriteAddrA+0], 0x4000, v[vgprLocalWriteAddrA+0] // swap Red Blk

/* local write swap offsets b */
v_xor_b32 v[vgprLocalWriteAddrB+0], 0x4000, v[vgprLocalWriteAddrB+0] // swap Red Blk

/* local read swap offsets a */
v_xor_b32 v[vgprLocalReadAddrA], 0x4000, v[vgprLocalReadAddrA] // swap Red Blk

/* local read swap offsets b */
v_xor_b32 v[vgprLocalReadAddrB], 0x4000, v[vgprLocalReadAddrB] // swap Red Blk

/* local read init pointers a */

/* localReadInitPointers */

/* local read init pointers b */

/* localReadInitPointers */
v_mfma_i32_32x32x8i8 a[32+0:47+0], v[vgprValuA_X4_I0+0+2+0], v[vgprValuB_X4_I0+8+2+0], a[32:47]
/* numPrefetchIter=0 */
/* dataAtIterA=0 numReadsIterA=1 skipReadsIterA=0 readsPerIterA=1 */
/* dataAtIterB=0 numReadsIterB=1 skipReadsIterB=0 readsPerIterB=3 */


/* iter 7 */

/*  grEndMfmaIndex:2, lwStartMfmaIndex:4, lwEndMfmaIndex:20  */
/*  numMfmaForLR:2, barrierMfmaIndex:21, LocalWritePerMfma:0.825 */
/*  mfmaIndex:21  */
s_waitcnt lgkmcnt(0)                               // lgkmcnt=0 vmcnt=-13wait for local write
// Skip force waitcnt0
s_barrier //
s_waitcnt lgkmcnt(14)                              // lgkmcnt=0 vmcnt=-1wait for prior local read local write old=0, new=14 newLW=14 newLR=0
v_mfma_i32_32x32x8i8 a[0+0:15+0], v[vgprValuA_X4_I0+0+3+0], v[vgprValuB_X4_I0+0+3+0], a[0:15]
/*  mfmaIndex:22  */
_ds_load_b128 v[vgprValuA_X0_I0+0:vgprValuA_X0_I0+0+3], v[vgprLocalReadAddrA] offset:0 // L -> Reg lro=0 swapByteOffset=0 ti=128 vIdx=0 rIdx=0 oIdx=0 buffer=0 iui=0
_ds_load_b128 v[vgprValuB_X0_I0+0:vgprValuB_X0_I0+0+3], v[vgprLocalReadAddrB] offset:0 // L -> Reg lro=0 swapByteOffset=0 ti=32 vIdx=0 rIdx=0 oIdx=0 buffer=0 iui=0
_ds_load_b128 v[vgprValuB_X0_I0+4:vgprValuB_X0_I0+4+3], v[vgprLocalReadAddrB] offset:2304 // L -> Reg lro=0 swapByteOffset=0 ti=32 vIdx=1 rIdx=0 oIdx=0 buffer=0 iui=0
v_mfma_i32_32x32x8i8 a[16+0:31+0], v[vgprValuA_X4_I0+0+3+0], v[vgprValuB_X4_I0+4+3+0], a[16:31]
/*  mfmaIndex:23  */
_ds_load_b128 v[vgprValuB_X0_I0+8:vgprValuB_X0_I0+8+3], v[vgprLocalReadAddrB] offset:4608 // L -> Reg lro=0 swapByteOffset=0 ti=32 vIdx=2 rIdx=0 oIdx=0 buffer=0 iui=0
v_mfma_i32_32x32x8i8 a[32+0:47+0], v[vgprValuA_X4_I0+0+3+0], v[vgprValuB_X4_I0+8+3+0], a[32:47]
/* numPrefetchIter=1 */
/* dataAtIterA=0 numReadsIterA=1 skipReadsIterA=1 readsPerIterA=1 */
/* dataAtIterB=0 numReadsIterB=1 skipReadsIterB=1 readsPerIterB=3 */

label_0014:


/******************************************/
/* Opt. NoLoadLoop Without PAP - Begin                                      */
/******************************************/

s_cmpk_eq_u32 s[sgprBeta], 0x0                     // Beta == 0
s_cbranch_scc0 OptNLL_End_16                       // Branch if Beta is not zero

s_cmp_eq_u32 s[sgprAlpha], 1                       // Alpha == 1.0 ?
s_cbranch_scc0 OptNLL_End_16                       // branch if alpha != 1

s_and_b32 s62, 127, s[sgprSizeI]                   // s62 = s[sgprSizeI] % 128
s_add_u32 s63, -0x1, s[sgprNumWorkGroups0]         // 
s_cmp_ge_u32 s[sgprWorkGroup0], s63                // wg0 >= nwg0-1 ?
s_cselect_b32 s62, s62, 0                          // set rMT0
s_cmpk_gt_u32 s62, 0x0                             // rMT0 > 0
s_cbranch_scc1 OptNLL_End_16                       // jump if edges required
s_mov_b32 s65, 0x0                                 // STATIC_DIV: divisior=96
s_mul_i32 s64, 0x555, s[sgprSizeJ]                 // tmp1 = dividend * magic hi
s_lshl_b64 s[64:65], s[64:65], 0x10                // left shift 16 bits
s_mul_i32 s63, s[sgprSizeJ], 0x5556                // tmp0 = dividend * magic lo
s_add_u32 s64, s63, s64                            // add lo
s_addc_u32 s65, s65, 0x0                           // add hi
s_lshr_b64 s[64:65], s[64:65], 0x21                // tmp1 = (dividend * magic) << shift
s_mov_b32 s63, s64                                 // quotient
s_mul_i32 s64, s63, 0x60                           // quotient*divisor
s_sub_u32 s62, s[sgprSizeJ], s64                   // rReg = dividend - quotient*divisor
s_add_u32 s63, -0x1, s[sgprNumWorkGroups1]         // 
s_cmp_ge_u32 s[sgprWorkGroup1], s63                // wg1 >= nwg1-1
s_cselect_b32 s62, s62, 0                          // set rMT1
s_cmpk_gt_u32 s62, 0x0                             // rMT1 > 0
s_cbranch_scc1 OptNLL_End_16                       // jump if edges required

s_and_b32 s63, 63, s[sgprSizesSum+0]               // s63 = s[sgprSizesSum+0] % 64
s_cmp_eq_u32 s63, 0x0                              // numIterL == 0
s_cbranch_scc0 OptNLL_End_16                       // skip if tail loop required


	;; [unrolled: 1-line block ×3, first 2 shown]
/* iter 0 (last unrolled loop) */

/*  grEndMfmaIndex:0, lwStartMfmaIndex:20, lwEndMfmaIndex:20  */
/*  numMfmaForLR:2, barrierMfmaIndex:21, LocalWritePerMfma:0.825 */
/*  mfmaIndex:0  */
s_waitcnt lgkmcnt(0)                               // lgkmcnt=0 vmcnt=-1wait for prior local read local write old=0, new=0 newLW=0 newLR=0
v_mfma_i32_32x32x8i8 a[0+0:15+0], v[vgprValuA_X0_I0+0+0+0], v[vgprValuB_X0_I0+0+0+0], a[0:15]
/*  mfmaIndex:1  */
_ds_load_b128 v[vgprValuA_X4_I0+0:vgprValuA_X4_I0+0+3], v[vgprLocalReadAddrA] offset:32 // L -> Reg lro=32 swapByteOffset=0 ti=128 vIdx=0 rIdx=0 oIdx=0 buffer=4 iui=0
_ds_load_b128 v[vgprValuB_X4_I0+0:vgprValuB_X4_I0+0+3], v[vgprLocalReadAddrB] offset:32 // L -> Reg lro=32 swapByteOffset=0 ti=32 vIdx=0 rIdx=0 oIdx=0 buffer=4 iui=0
_ds_load_b128 v[vgprValuB_X4_I0+4:vgprValuB_X4_I0+4+3], v[vgprLocalReadAddrB] offset:2336 // L -> Reg lro=32 swapByteOffset=0 ti=32 vIdx=1 rIdx=0 oIdx=0 buffer=4 iui=0
v_mfma_i32_32x32x8i8 a[16+0:31+0], v[vgprValuA_X0_I0+0+0+0], v[vgprValuB_X0_I0+4+0+0], a[16:31]
/*  mfmaIndex:2  */
_ds_load_b128 v[vgprValuB_X4_I0+8:vgprValuB_X4_I0+8+3], v[vgprLocalReadAddrB] offset:4640 // L -> Reg lro=32 swapByteOffset=0 ti=32 vIdx=2 rIdx=0 oIdx=0 buffer=4 iui=0
/* localReadsVacancy: latencyLeft 9 */
v_mfma_i32_32x32x8i8 a[32+0:47+0], v[vgprValuA_X0_I0+0+0+0], v[vgprValuB_X0_I0+8+0+0], a[32:47]
/* numPrefetchIter=0 */
/* dataAtIterA=-1 numReadsIterA=1 skipReadsIterA=1 readsPerIterA=1 */
/* dataAtIterB=-1 numReadsIterB=1 skipReadsIterB=1 readsPerIterB=3 */


/* iter 1 (last unrolled loop) */

/*  grEndMfmaIndex:0, lwStartMfmaIndex:20, lwEndMfmaIndex:20  */
/*  numMfmaForLR:2, barrierMfmaIndex:21, LocalWritePerMfma:0.825 */
/*  mfmaIndex:3  */
/* localReadsVacancy: latencyLeft 13 */
s_waitcnt lgkmcnt(4)                               // lgkmcnt=0 vmcnt=-1wait for prior local read local write old=0, new=4 newLW=0 newLR=4
v_mfma_i32_32x32x8i8 a[0+0:15+0], v[vgprValuA_X0_I0+0+1+0], v[vgprValuB_X0_I0+0+1+0], a[0:15]
/*  mfmaIndex:4  */
/* localReadsVacancy: latencyLeft 13 */
v_mfma_i32_32x32x8i8 a[16+0:31+0], v[vgprValuA_X0_I0+0+1+0], v[vgprValuB_X0_I0+4+1+0], a[16:31]
/*  mfmaIndex:5  */
/* localReadsVacancy: latencyLeft 13 */
v_mfma_i32_32x32x8i8 a[32+0:47+0], v[vgprValuA_X0_I0+0+1+0], v[vgprValuB_X0_I0+8+1+0], a[32:47]
/* numPrefetchIter=0 */
/* dataAtIterA=-1 numReadsIterA=1 skipReadsIterA=1 readsPerIterA=1 */
/* dataAtIterB=-1 numReadsIterB=1 skipReadsIterB=1 readsPerIterB=3 */


/* iter 2 (last unrolled loop) */

/*  grEndMfmaIndex:0, lwStartMfmaIndex:20, lwEndMfmaIndex:20  */
/*  numMfmaForLR:2, barrierMfmaIndex:21, LocalWritePerMfma:0.825 */
/*  mfmaIndex:6  */
/* localReadsVacancy: latencyLeft 13 */
s_waitcnt lgkmcnt(4)                               // lgkmcnt=0 vmcnt=-1wait for prior local read local write old=0, new=4 newLW=0 newLR=4
v_mfma_i32_32x32x8i8 a[0+0:15+0], v[vgprValuA_X0_I0+0+2+0], v[vgprValuB_X0_I0+0+2+0], a[0:15]
/*  mfmaIndex:7  */
/* localReadsVacancy: latencyLeft 13 */
v_mfma_i32_32x32x8i8 a[16+0:31+0], v[vgprValuA_X0_I0+0+2+0], v[vgprValuB_X0_I0+4+2+0], a[16:31]
/*  mfmaIndex:8  */
	;; [unrolled: 19-line block ×3, first 2 shown]
/* localReadsVacancy: latencyLeft 13 */
v_mfma_i32_32x32x8i8 a[32+0:47+0], v[vgprValuA_X0_I0+0+3+0], v[vgprValuB_X0_I0+8+3+0], a[32:47]
/* numPrefetchIter=0 */
/* dataAtIterA=-1 numReadsIterA=1 skipReadsIterA=1 readsPerIterA=1 */
/* dataAtIterB=-1 numReadsIterB=1 skipReadsIterB=1 readsPerIterB=3 */


/* iter 4 (last unrolled loop) */

/*  grEndMfmaIndex:0, lwStartMfmaIndex:20, lwEndMfmaIndex:20  */
/*  numMfmaForLR:2, barrierMfmaIndex:21, LocalWritePerMfma:0.825 */
/*  mfmaIndex:12  */
/* localReadsVacancy: latencyLeft 13 */
s_waitcnt lgkmcnt(0)                               // lgkmcnt=0 vmcnt=-1wait for prior local read local write old=0, new=0 newLW=0 newLR=0
v_mfma_i32_32x32x8i8 a[0+0:15+0], v[vgprValuA_X4_I0+0+0+0], v[vgprValuB_X4_I0+0+0+0], a[0:15]
/*  mfmaIndex:13  */
/* localReadsVacancy: latencyLeft 13 */
v_mfma_i32_32x32x8i8 a[16+0:31+0], v[vgprValuA_X4_I0+0+0+0], v[vgprValuB_X4_I0+4+0+0], a[16:31]
/*  mfmaIndex:14  */
/* localReadsVacancy: latencyLeft 13 */
v_mfma_i32_32x32x8i8 a[32+0:47+0], v[vgprValuA_X4_I0+0+0+0], v[vgprValuB_X4_I0+8+0+0], a[32:47]
/* numPrefetchIter=0 */
/* dataAtIterA=0 numReadsIterA=1 skipReadsIterA=0 readsPerIterA=1 */
/* dataAtIterB=0 numReadsIterB=1 skipReadsIterB=0 readsPerIterB=3 */


/* iter 5 (last unrolled loop) */

/*  grEndMfmaIndex:0, lwStartMfmaIndex:20, lwEndMfmaIndex:20  */
/*  numMfmaForLR:2, barrierMfmaIndex:21, LocalWritePerMfma:0.825 */
/*  mfmaIndex:15  */
/* localReadsVacancy: latencyLeft 13 */
s_waitcnt lgkmcnt(0)                               // lgkmcnt=0 vmcnt=-1wait for prior local read local write old=0, new=0 newLW=0 newLR=0
v_mfma_i32_32x32x8i8 a[0+0:15+0], v[vgprValuA_X4_I0+0+1+0], v[vgprValuB_X4_I0+0+1+0], a[0:15]
/*  mfmaIndex:16  */
/* localReadsVacancy: latencyLeft 13 */
v_mfma_i32_32x32x8i8 a[16+0:31+0], v[vgprValuA_X4_I0+0+1+0], v[vgprValuB_X4_I0+4+1+0], a[16:31]
/*  mfmaIndex:17  */
/* localReadsVacancy: latencyLeft 13 */
v_mfma_i32_32x32x8i8 a[32+0:47+0], v[vgprValuA_X4_I0+0+1+0], v[vgprValuB_X4_I0+8+1+0], a[32:47]
/* numPrefetchIter=0 */
/* dataAtIterA=0 numReadsIterA=1 skipReadsIterA=0 readsPerIterA=1 */
/* dataAtIterB=0 numReadsIterB=1 skipReadsIterB=0 readsPerIterB=3 */
	;; [unrolled: 19-line block ×3, first 2 shown]


/* iter 7 (last unrolled loop) */

/*  grEndMfmaIndex:0, lwStartMfmaIndex:20, lwEndMfmaIndex:20  */
/*  numMfmaForLR:2, barrierMfmaIndex:21, LocalWritePerMfma:0.825 */
/*  mfmaIndex:21  */
s_waitcnt lgkmcnt(0)                               // lgkmcnt=0 vmcnt=-1wait for prior local read local write old=0, new=0 newLW=0 newLR=0
v_mfma_i32_32x32x8i8 a[0+0:15+0], v[vgprValuA_X4_I0+0+3+0], v[vgprValuB_X4_I0+0+3+0], a[0:15]
/*  mfmaIndex:22  */
v_mfma_i32_32x32x8i8 a[16+0:31+0], v[vgprValuA_X4_I0+0+3+0], v[vgprValuB_X4_I0+4+3+0], a[16:31]
/*  mfmaIndex:23  */
v_mfma_i32_32x32x8i8 a[32+0:47+0], v[vgprValuA_X4_I0+0+3+0], v[vgprValuB_X4_I0+8+3+0], a[32:47]
/* numPrefetchIter=0 */
/* dataAtIterA=0 numReadsIterA=1 skipReadsIterA=0 readsPerIterA=1 */
/* dataAtIterB=0 numReadsIterB=1 skipReadsIterB=0 readsPerIterB=3 */

/* Stores for OptNLL */
Summation_End_OptNLL_17:
/* endSummation: add vgpr [0...50) to pool */
.set ScalarGlobalReadOffsetA, UNDEF

/* Mapping of Acc register -> C Vgpr register */
/* computeStoreVgprs */
v_lshrrev_b32 v4, 6, v[vgprSerial]                 // v4 = v[vgprSerial] / 64
v_lshrrev_b32 v1, 2, v4                            // v1 = v4 / 4
v_mul_lo_u32 v1, 0x20, v1                          // wave coordination offset 1
v_and_b32 v5, 31, v[vgprSerial]                    // v5 = v[vgprSerial] % 32
_v_add_lshl_u32 v1, v5, v1, 0                      // coordination 1 = vwb *(wave_id1 + tid1)
v_mul_lo_u32 v2, v1, s[sgprStrideC1J]              //  offset 1
v_mul_lo_u32 v3, v1, s[sgprStrideD1J]              //  offset 1
v_and_b32 v0, 63, v[vgprSerial]                    // v0 = v[vgprSerial] % 64
v_lshrrev_b32 v0, 5, v0                            // v0 = v0 / 32
v_lshlrev_b32 v0, 0x2, v0                          // thread0 * continuous_output
v_and_b32 v5, 3, v4                                // v5 = v4 % 4
v_mul_lo_u32 v5, 0x20, v5                          // wave coordination offset 0
_v_add_lshl_u32 v0, v5, v0, 0                      // coordination 0 = vwa *(wave_id0 + tid0)
s_mul_i32 s52, 128, s[sgprWorkGroup0]              // wgp0 * MT0
_v_add_u32 v0, s52, v0                             // coord 0 = (tid0/MI_m)*4 + waveG0*MIB_m + MT0*SG0
s_mul_i32 s52, 96, s[sgprWorkGroup1]               // wgp1 * MT1
_v_add_u32 v1, s52, v1                             // coord 1 = (tid0%MI_m) + waveG1*MIB_n + MT1*SG1
/* Store Remap Local Write address */
v_lshrrev_b32 v5, 8, v[vgprSerial]                 // v5 = v[vgprSerial] / 256
v_and_b32 v4, 255, v[vgprSerial]                   // v4 = v[vgprSerial] % 256
v_mul_lo_u32 v13, 0x20, v5                         // coord1 offset of LDS for each Wave
v_and_b32 v5, 0x1f, v[vgprSerial]                  // coord1 offset of LDS for each thread
_v_add_u32 v5, v13, v5                             // coord1 offset in MacroTile
v_mov_b32 v11, 0x84                                // lds stride = MT0 + PAD
v_mul_lo_u32 v9, v5, v11                           // lds coord1 offset = Col-id* lds stride
v_lshrrev_b32 v10, 6, v4                           // v10 = v4 / 64
v_and_b32 v4, 63, v4                               // v4 = v4 % 64
v_lshrrev_b32 v12, 0x5, v4                         // tid / matrixInstN
v_lshlrev_b32 v12, 0x2, v12                        // lds coord0 offset *= 4 (each thread hold 4 element)
v_mad_u32_u24 v12, 32, v10, v12                    // coord0 += waveCoord0 * wave M shape(blockM*MiM)
_v_add_lshl_u32 v7, v9, v12, 0x2                   // local write C address

/* Store Remap Local Read address */
v_lshrrev_b32 v5, 6, v[vgprSerial]                 // v5 = v[vgprSerial] / 64
v_and_b32 v4, 63, v[vgprSerial]                    // v4 = v[vgprSerial] % 64
v_mul_lo_u32 v13, 0x8, v5                          // coord1 offset of LDS for each Wave
v_lshrrev_b32 v10, 0x5, v4                         // tid / nThreadPerCol
_v_add_u32 v6, v13, v10                            // coord1 offset in MacroTile
v_mul_lo_u32 v9, v6, v11                           // lds coord1 offset = Col-id* lds stride
v_and_b32 v12, 0x1f, v4                            // coord0 offset of LDS for each thread
v_lshlrev_b32 v12, 0x2, v12                        // lds coord0 offset *= gwvw (each thread hold gwvw element)
_v_add_lshl_u32 v8, v9, v12, 0x2                   // local read C address

/* Store Remap global write coord0 and coord1 */
v_lshrrev_b32 v5, 8, v[vgprSerial]                 // v5 = v[vgprSerial] / 256
v_and_b32 v4, 255, v[vgprSerial]                   // v4 = v[vgprSerial] % 256
v_mul_lo_u32 v13, 0x20, v5                         // coord1 offset of global memory for each Wave
v_lshrrev_b32 v5, 6, v4                            // v5 = v4 / 64
v_and_b32 v4, 63, v4                               // v4 = v4 % 64
v_mad_u32_u24 v13, 8, v5, v13                      // waveCoord1 += waveCoord0 * MiN / WaveGroupM
v_lshrrev_b32 v10, 0x5, v4                         // tid / nThreadPerCol
_v_add_u32 v6, v13, v10                            // coord1 offset in MacroTile
s_mul_i32 s52, 0x80, s[sgprWorkGroup0]             // s52 = wg0*MT0
_v_add_co_u32 v4, vcc, s52, v12                    // coord0 = coord0 + wg0 * MT0
s_mul_i32 s53, MT1, s[sgprWorkGroup1]              // <- wg1*MT1
_v_add_co_u32 v5, vcc, s53, v6                     // coord1 = tid1*VW + wg1*MT1

// Skip force waitcnt0
s_barrier //StoreRemap Start
GW_B0_E0_20:

/* edge=0, allocate 2 sgpr. perBatchTmpS=2 perBatchMaskS=0 perElementMaskS=0 elementsPerBatch=4 */
/* optSingleColVgpr=1 optSharedColVgpr=0 optSGPRUsage=BufferLoad_Mask optSrdIncForRow=1 */

/******************************************/
/* Global Write Batch #0 (d1,d0,vc1,vc0) = */
/*    (0,0,0,0:vw4); (0,1,0,0:vw4); (0,2,0,0:vw4); (0,3,0,0:vw4) */
/******************************************/

/* calc coords, apply mask, and issue loads (if necessary) */
/* (d1,vc1,d0,vc0)=(0,0,0,0) */
/* (d1,vc1,d0,vc0)=(0,0,1,0) */
	;; [unrolled: 1-line block ×4, first 2 shown]
_v_add_lshl_u32 v9, v3, v0, 0x2                    // optSingleColVgpr scaleToBpe: sharedAddrVgpr <- cinRowPtr + coord0, scaled by BPE. BSHERE:coord0=0, coord0Vgpr=0
v_accvgpr_read_b32 v[vgprValuC+16], acc0 // copy acc to vreg[0]
v_accvgpr_read_b32 v[vgprValuC+17], acc1 // copy acc to vreg[1]
v_accvgpr_read_b32 v[vgprValuC+18], acc2 // copy acc to vreg[2]
v_accvgpr_read_b32 v[vgprValuC+19], acc3 // copy acc to vreg[3]
v_accvgpr_read_b32 v[vgprValuC+20], acc4 // copy acc to vreg[4]
v_accvgpr_read_b32 v[vgprValuC+21], acc5 // copy acc to vreg[5]
v_accvgpr_read_b32 v[vgprValuC+22], acc6 // copy acc to vreg[6]
v_accvgpr_read_b32 v[vgprValuC+23], acc7 // copy acc to vreg[7]
v_accvgpr_read_b32 v[vgprValuC+24], acc8 // copy acc to vreg[8]
v_accvgpr_read_b32 v[vgprValuC+25], acc9 // copy acc to vreg[9]
v_accvgpr_read_b32 v[vgprValuC+26], acc10 // copy acc to vreg[10]
v_accvgpr_read_b32 v[vgprValuC+27], acc11 // copy acc to vreg[11]
v_accvgpr_read_b32 v[vgprValuC+28], acc12 // copy acc to vreg[12]
v_accvgpr_read_b32 v[vgprValuC+29], acc13 // copy acc to vreg[13]
v_accvgpr_read_b32 v[vgprValuC+30], acc14 // copy acc to vreg[14]
v_accvgpr_read_b32 v[vgprValuC+31], acc15 // copy acc to vreg[15]
s_nop 1                                            // 2 wait states required before reading vgpr

/* apply mask, calc new C and issue writes */
_ds_store_b128 v7, v[16:19], offset:0              // storeRemap lw
_ds_store_b128 v7, v[20:23], offset:32             // storeRemap lw
_ds_store_b128 v7, v[24:27], offset:64             // storeRemap lw
	;; [unrolled: 1-line block ×3, first 2 shown]

/* Handle local read and global write */
s_waitcnt lgkmcnt(0)                               // wait for LDS write
s_barrier //wait all lds write finished

_ds_load_b128 v[16:19], v8, offset:0               // storeRemap lr
_ds_load_b128 v[20:23], v8, offset:1056            // storeRemap lr
_ds_load_b128 v[24:27], v8, offset:2112            // storeRemap lr
	;; [unrolled: 1-line block ×3, first 2 shown]

v_mov_b32 v13, v6                                  // coord1
v_mul_lo_u32 v13, v13, s[sgprStrideD1J]            // coord1 offset =  coord1 * StrideD
_v_add_lshl_u32 v13, v13, v4, 0x2                  // global write D address
s_waitcnt lgkmcnt(3)                               // wait for LDS read
_buffer_store_b128 v[16:19], v13, s[sgprSrdD:sgprSrdD+3], 0, offen, offset:0 // store D
_v_add_u32 v13, v6, 2                              // coord1 += nColPerLoad
v_mul_lo_u32 v13, v13, s[sgprStrideD1J]            // coord1 offset =  coord1 * StrideD
_v_add_lshl_u32 v13, v13, v4, 0x2                  // global write D address
s_waitcnt lgkmcnt(2)                               // wait for LDS read
_buffer_store_b128 v[20:23], v13, s[sgprSrdD:sgprSrdD+3], 0, offen, offset:0 // store D
_v_add_u32 v13, v6, 4                              // coord1 += nColPerLoad
	;; [unrolled: 5-line block ×3, first 2 shown]
v_mul_lo_u32 v13, v13, s[sgprStrideD1J]            // coord1 offset =  coord1 * StrideD
_v_add_lshl_u32 v13, v13, v4, 0x2                  // global write D address
s_waitcnt lgkmcnt(0)                               // wait for LDS read
_buffer_store_b128 v[28:31], v13, s[sgprSrdD:sgprSrdD+3], 0, offen, offset:0 // store D

s_barrier //wait all lds read finished
s_nop 0                                            // 1 wait state required when next inst writes vgprs held by previous dwordx4 store inst
/* optSingleColVgpr=1 optSharedColVgpr=0 optSGPRUsage=BufferLoad_Mask optSrdIncForRow=1 */

/******************************************/
/* Global Write Batch #1 (d1,d0,vc1,vc0) = */
/*    (1,0,0,0:vw4); (1,1,0,0:vw4); (1,2,0,0:vw4); (1,3,0,0:vw4) */
/******************************************/

/* calc coords, apply mask, and issue loads (if necessary) */
/* (d1,vc1,d0,vc0)=(1,0,0,0) */
/* (d1,vc1,d0,vc0)=(1,0,1,0) */
	;; [unrolled: 1-line block ×4, first 2 shown]
v_accvgpr_read_b32 v[vgprValuC+16], acc16 // copy acc to vreg[16]
v_accvgpr_read_b32 v[vgprValuC+17], acc17 // copy acc to vreg[17]
v_accvgpr_read_b32 v[vgprValuC+18], acc18 // copy acc to vreg[18]
v_accvgpr_read_b32 v[vgprValuC+19], acc19 // copy acc to vreg[19]
v_accvgpr_read_b32 v[vgprValuC+20], acc20 // copy acc to vreg[20]
v_accvgpr_read_b32 v[vgprValuC+21], acc21 // copy acc to vreg[21]
v_accvgpr_read_b32 v[vgprValuC+22], acc22 // copy acc to vreg[22]
v_accvgpr_read_b32 v[vgprValuC+23], acc23 // copy acc to vreg[23]
v_accvgpr_read_b32 v[vgprValuC+24], acc24 // copy acc to vreg[24]
v_accvgpr_read_b32 v[vgprValuC+25], acc25 // copy acc to vreg[25]
v_accvgpr_read_b32 v[vgprValuC+26], acc26 // copy acc to vreg[26]
v_accvgpr_read_b32 v[vgprValuC+27], acc27 // copy acc to vreg[27]
v_accvgpr_read_b32 v[vgprValuC+28], acc28 // copy acc to vreg[28]
v_accvgpr_read_b32 v[vgprValuC+29], acc29 // copy acc to vreg[29]
v_accvgpr_read_b32 v[vgprValuC+30], acc30 // copy acc to vreg[30]
v_accvgpr_read_b32 v[vgprValuC+31], acc31 // copy acc to vreg[31]
s_nop 1                                            // 2 wait states required before reading vgpr

/* apply mask, calc new C and issue writes */

/* StoreRemap: shift coord1 address */
s_mul_i32 s52, s[sgprStrideD1J], 128               // scale StrideD *= numRows(32) * bpe
s_add_u32  s[sgprSrdD+0], s[sgprSrdD+0], s52       // incToNextRow: gra SRD += inc(lower)
s_addc_u32  s[sgprSrdD+1], s[sgprSrdD+1], 0        // incToNextRow: gra SRD += inc(upper)
v_mov_b32 v10, 32                                  // set shift rows
_v_add_u32 v5, v5, v10                             // shift storeRemap coord1
_ds_store_b128 v7, v[16:19], offset:0              // storeRemap lw
_ds_store_b128 v7, v[20:23], offset:32             // storeRemap lw
_ds_store_b128 v7, v[24:27], offset:64             // storeRemap lw
	;; [unrolled: 1-line block ×3, first 2 shown]

/* Handle local read and global write */
s_waitcnt lgkmcnt(0)                               // wait for LDS write
s_barrier //wait all lds write finished

_ds_load_b128 v[16:19], v8, offset:0               // storeRemap lr
_ds_load_b128 v[20:23], v8, offset:1056            // storeRemap lr
_ds_load_b128 v[24:27], v8, offset:2112            // storeRemap lr
	;; [unrolled: 1-line block ×3, first 2 shown]

v_mov_b32 v13, v6                                  // coord1
v_mul_lo_u32 v13, v13, s[sgprStrideD1J]            // coord1 offset =  coord1 * StrideD
_v_add_lshl_u32 v13, v13, v4, 0x2                  // global write D address
s_waitcnt lgkmcnt(3)                               // wait for LDS read
_buffer_store_b128 v[16:19], v13, s[sgprSrdD:sgprSrdD+3], 0, offen, offset:0 // store D
_v_add_u32 v13, v6, 2                              // coord1 += nColPerLoad
v_mul_lo_u32 v13, v13, s[sgprStrideD1J]            // coord1 offset =  coord1 * StrideD
_v_add_lshl_u32 v13, v13, v4, 0x2                  // global write D address
s_waitcnt lgkmcnt(2)                               // wait for LDS read
_buffer_store_b128 v[20:23], v13, s[sgprSrdD:sgprSrdD+3], 0, offen, offset:0 // store D
_v_add_u32 v13, v6, 4                              // coord1 += nColPerLoad
	;; [unrolled: 5-line block ×3, first 2 shown]
v_mul_lo_u32 v13, v13, s[sgprStrideD1J]            // coord1 offset =  coord1 * StrideD
_v_add_lshl_u32 v13, v13, v4, 0x2                  // global write D address
s_waitcnt lgkmcnt(0)                               // wait for LDS read
_buffer_store_b128 v[28:31], v13, s[sgprSrdD:sgprSrdD+3], 0, offen, offset:0 // store D

s_barrier //wait all lds read finished
s_nop 0                                            // 1 wait state required when next inst writes vgprs held by previous dwordx4 store inst
/* optSingleColVgpr=1 optSharedColVgpr=0 optSGPRUsage=BufferLoad_Mask optSrdIncForRow=1 */

/******************************************/
/* Global Write Batch #2 (d1,d0,vc1,vc0) = */
/*    (2,0,0,0:vw4); (2,1,0,0:vw4); (2,2,0,0:vw4); (2,3,0,0:vw4) */
/******************************************/

/* calc coords, apply mask, and issue loads (if necessary) */
/* (d1,vc1,d0,vc0)=(2,0,0,0) */
/* (d1,vc1,d0,vc0)=(2,0,1,0) */
	;; [unrolled: 1-line block ×4, first 2 shown]
v_accvgpr_read_b32 v[vgprValuC+16], acc32 // copy acc to vreg[32]
v_accvgpr_read_b32 v[vgprValuC+17], acc33 // copy acc to vreg[33]
v_accvgpr_read_b32 v[vgprValuC+18], acc34 // copy acc to vreg[34]
v_accvgpr_read_b32 v[vgprValuC+19], acc35 // copy acc to vreg[35]
v_accvgpr_read_b32 v[vgprValuC+20], acc36 // copy acc to vreg[36]
v_accvgpr_read_b32 v[vgprValuC+21], acc37 // copy acc to vreg[37]
v_accvgpr_read_b32 v[vgprValuC+22], acc38 // copy acc to vreg[38]
v_accvgpr_read_b32 v[vgprValuC+23], acc39 // copy acc to vreg[39]
v_accvgpr_read_b32 v[vgprValuC+24], acc40 // copy acc to vreg[40]
v_accvgpr_read_b32 v[vgprValuC+25], acc41 // copy acc to vreg[41]
v_accvgpr_read_b32 v[vgprValuC+26], acc42 // copy acc to vreg[42]
v_accvgpr_read_b32 v[vgprValuC+27], acc43 // copy acc to vreg[43]
v_accvgpr_read_b32 v[vgprValuC+28], acc44 // copy acc to vreg[44]
v_accvgpr_read_b32 v[vgprValuC+29], acc45 // copy acc to vreg[45]
v_accvgpr_read_b32 v[vgprValuC+30], acc46 // copy acc to vreg[46]
v_accvgpr_read_b32 v[vgprValuC+31], acc47 // copy acc to vreg[47]
s_nop 1                                            // 2 wait states required before reading vgpr

/* apply mask, calc new C and issue writes */

/* StoreRemap: shift coord1 address */
s_mul_i32 s52, s[sgprStrideD1J], 128               // scale StrideD *= numRows(32) * bpe
s_add_u32  s[sgprSrdD+0], s[sgprSrdD+0], s52       // incToNextRow: gra SRD += inc(lower)
s_addc_u32  s[sgprSrdD+1], s[sgprSrdD+1], 0        // incToNextRow: gra SRD += inc(upper)
v_mov_b32 v10, 32                                  // set shift rows
_v_add_u32 v5, v5, v10                             // shift storeRemap coord1
_ds_store_b128 v7, v[16:19], offset:0              // storeRemap lw
_ds_store_b128 v7, v[20:23], offset:32             // storeRemap lw
_ds_store_b128 v7, v[24:27], offset:64             // storeRemap lw
	;; [unrolled: 1-line block ×3, first 2 shown]

/* Handle local read and global write */
s_waitcnt lgkmcnt(0)                               // wait for LDS write
s_barrier //wait all lds write finished

_ds_load_b128 v[16:19], v8, offset:0               // storeRemap lr
_ds_load_b128 v[20:23], v8, offset:1056            // storeRemap lr
_ds_load_b128 v[24:27], v8, offset:2112            // storeRemap lr
	;; [unrolled: 1-line block ×3, first 2 shown]

v_mov_b32 v13, v6                                  // coord1
v_mul_lo_u32 v13, v13, s[sgprStrideD1J]            // coord1 offset =  coord1 * StrideD
_v_add_lshl_u32 v13, v13, v4, 0x2                  // global write D address
s_waitcnt lgkmcnt(3)                               // wait for LDS read
_buffer_store_b128 v[16:19], v13, s[sgprSrdD:sgprSrdD+3], 0, offen, offset:0 // store D
_v_add_u32 v13, v6, 2                              // coord1 += nColPerLoad
v_mul_lo_u32 v13, v13, s[sgprStrideD1J]            // coord1 offset =  coord1 * StrideD
_v_add_lshl_u32 v13, v13, v4, 0x2                  // global write D address
s_waitcnt lgkmcnt(2)                               // wait for LDS read
_buffer_store_b128 v[20:23], v13, s[sgprSrdD:sgprSrdD+3], 0, offen, offset:0 // store D
_v_add_u32 v13, v6, 4                              // coord1 += nColPerLoad
v_mul_lo_u32 v13, v13, s[sgprStrideD1J]            // coord1 offset =  coord1 * StrideD
_v_add_lshl_u32 v13, v13, v4, 0x2                  // global write D address
s_waitcnt lgkmcnt(1)                               // wait for LDS read
_buffer_store_b128 v[24:27], v13, s[sgprSrdD:sgprSrdD+3], 0, offen, offset:0 // store D
_v_add_u32 v13, v6, 6                              // coord1 += nColPerLoad
v_mul_lo_u32 v13, v13, s[sgprStrideD1J]            // coord1 offset =  coord1 * StrideD
_v_add_lshl_u32 v13, v13, v4, 0x2                  // global write D address
s_waitcnt lgkmcnt(0)                               // wait for LDS read
_buffer_store_b128 v[28:31], v13, s[sgprSrdD:sgprSrdD+3], 0, offen, offset:0 // store D

s_barrier //wait all lds read finished
s_nop 0                                            // 1 wait state required when next inst writes vgprs held by previous dwordx4 store inst
s_branch label_GW_End_22                           // jump to end
label_GW_End_22:

s_endpgm                                           // Kernel End
OptNLL_End_16:


/******************************************/
/* Ord. NoLoadLoop - Begin                                      */
/******************************************/


	;; [unrolled: 1-line block ×4, first 2 shown]
/* iter 0 (last unrolled loop) */

/*  grEndMfmaIndex:0, lwStartMfmaIndex:20, lwEndMfmaIndex:20  */
/*  numMfmaForLR:2, barrierMfmaIndex:21, LocalWritePerMfma:0.825 */
/*  mfmaIndex:0  */
s_waitcnt lgkmcnt(0)                               // lgkmcnt=0 vmcnt=-1wait for prior local read local write old=0, new=0 newLW=0 newLR=0
v_mfma_i32_32x32x8i8 a[0+0:15+0], v[vgprValuA_X0_I0+0+0+0], v[vgprValuB_X0_I0+0+0+0], a[0:15]
/*  mfmaIndex:1  */
_ds_load_b128 v[vgprValuA_X4_I0+0:vgprValuA_X4_I0+0+3], v[vgprLocalReadAddrA] offset:32 // L -> Reg lro=32 swapByteOffset=0 ti=128 vIdx=0 rIdx=0 oIdx=0 buffer=4 iui=0
_ds_load_b128 v[vgprValuB_X4_I0+0:vgprValuB_X4_I0+0+3], v[vgprLocalReadAddrB] offset:32 // L -> Reg lro=32 swapByteOffset=0 ti=32 vIdx=0 rIdx=0 oIdx=0 buffer=4 iui=0
_ds_load_b128 v[vgprValuB_X4_I0+4:vgprValuB_X4_I0+4+3], v[vgprLocalReadAddrB] offset:2336 // L -> Reg lro=32 swapByteOffset=0 ti=32 vIdx=1 rIdx=0 oIdx=0 buffer=4 iui=0
v_mfma_i32_32x32x8i8 a[16+0:31+0], v[vgprValuA_X0_I0+0+0+0], v[vgprValuB_X0_I0+4+0+0], a[16:31]
/*  mfmaIndex:2  */
_ds_load_b128 v[vgprValuB_X4_I0+8:vgprValuB_X4_I0+8+3], v[vgprLocalReadAddrB] offset:4640 // L -> Reg lro=32 swapByteOffset=0 ti=32 vIdx=2 rIdx=0 oIdx=0 buffer=4 iui=0
/* localReadsVacancy: latencyLeft 9 */
v_mfma_i32_32x32x8i8 a[32+0:47+0], v[vgprValuA_X0_I0+0+0+0], v[vgprValuB_X0_I0+8+0+0], a[32:47]
/* numPrefetchIter=0 */
/* dataAtIterA=-1 numReadsIterA=1 skipReadsIterA=1 readsPerIterA=1 */
/* dataAtIterB=-1 numReadsIterB=1 skipReadsIterB=1 readsPerIterB=3 */


/* iter 1 (last unrolled loop) */

/*  grEndMfmaIndex:0, lwStartMfmaIndex:20, lwEndMfmaIndex:20  */
/*  numMfmaForLR:2, barrierMfmaIndex:21, LocalWritePerMfma:0.825 */
/*  mfmaIndex:3  */
/* localReadsVacancy: latencyLeft 13 */
s_waitcnt lgkmcnt(4)                               // lgkmcnt=0 vmcnt=-1wait for prior local read local write old=0, new=4 newLW=0 newLR=4
v_mfma_i32_32x32x8i8 a[0+0:15+0], v[vgprValuA_X0_I0+0+1+0], v[vgprValuB_X0_I0+0+1+0], a[0:15]
/*  mfmaIndex:4  */
/* localReadsVacancy: latencyLeft 13 */
v_mfma_i32_32x32x8i8 a[16+0:31+0], v[vgprValuA_X0_I0+0+1+0], v[vgprValuB_X0_I0+4+1+0], a[16:31]
/*  mfmaIndex:5  */
/* localReadsVacancy: latencyLeft 13 */
v_mfma_i32_32x32x8i8 a[32+0:47+0], v[vgprValuA_X0_I0+0+1+0], v[vgprValuB_X0_I0+8+1+0], a[32:47]
/* numPrefetchIter=0 */
/* dataAtIterA=-1 numReadsIterA=1 skipReadsIterA=1 readsPerIterA=1 */
/* dataAtIterB=-1 numReadsIterB=1 skipReadsIterB=1 readsPerIterB=3 */


/* iter 2 (last unrolled loop) */

/*  grEndMfmaIndex:0, lwStartMfmaIndex:20, lwEndMfmaIndex:20  */
/*  numMfmaForLR:2, barrierMfmaIndex:21, LocalWritePerMfma:0.825 */
/*  mfmaIndex:6  */
/* localReadsVacancy: latencyLeft 13 */
s_waitcnt lgkmcnt(4)                               // lgkmcnt=0 vmcnt=-1wait for prior local read local write old=0, new=4 newLW=0 newLR=4
v_mfma_i32_32x32x8i8 a[0+0:15+0], v[vgprValuA_X0_I0+0+2+0], v[vgprValuB_X0_I0+0+2+0], a[0:15]
/*  mfmaIndex:7  */
/* localReadsVacancy: latencyLeft 13 */
v_mfma_i32_32x32x8i8 a[16+0:31+0], v[vgprValuA_X0_I0+0+2+0], v[vgprValuB_X0_I0+4+2+0], a[16:31]
/*  mfmaIndex:8  */
	;; [unrolled: 19-line block ×3, first 2 shown]
/* localReadsVacancy: latencyLeft 13 */
v_mfma_i32_32x32x8i8 a[32+0:47+0], v[vgprValuA_X0_I0+0+3+0], v[vgprValuB_X0_I0+8+3+0], a[32:47]
/* numPrefetchIter=0 */
/* dataAtIterA=-1 numReadsIterA=1 skipReadsIterA=1 readsPerIterA=1 */
/* dataAtIterB=-1 numReadsIterB=1 skipReadsIterB=1 readsPerIterB=3 */


/* iter 4 (last unrolled loop) */

/*  grEndMfmaIndex:0, lwStartMfmaIndex:20, lwEndMfmaIndex:20  */
/*  numMfmaForLR:2, barrierMfmaIndex:21, LocalWritePerMfma:0.825 */
/*  mfmaIndex:12  */
/* localReadsVacancy: latencyLeft 13 */
s_waitcnt lgkmcnt(0)                               // lgkmcnt=0 vmcnt=-1wait for prior local read local write old=0, new=0 newLW=0 newLR=0
v_mfma_i32_32x32x8i8 a[0+0:15+0], v[vgprValuA_X4_I0+0+0+0], v[vgprValuB_X4_I0+0+0+0], a[0:15]
/*  mfmaIndex:13  */
/* localReadsVacancy: latencyLeft 13 */
v_mfma_i32_32x32x8i8 a[16+0:31+0], v[vgprValuA_X4_I0+0+0+0], v[vgprValuB_X4_I0+4+0+0], a[16:31]
/*  mfmaIndex:14  */
/* localReadsVacancy: latencyLeft 13 */
v_mfma_i32_32x32x8i8 a[32+0:47+0], v[vgprValuA_X4_I0+0+0+0], v[vgprValuB_X4_I0+8+0+0], a[32:47]
/* numPrefetchIter=0 */
/* dataAtIterA=0 numReadsIterA=1 skipReadsIterA=0 readsPerIterA=1 */
/* dataAtIterB=0 numReadsIterB=1 skipReadsIterB=0 readsPerIterB=3 */


/* iter 5 (last unrolled loop) */

/*  grEndMfmaIndex:0, lwStartMfmaIndex:20, lwEndMfmaIndex:20  */
/*  numMfmaForLR:2, barrierMfmaIndex:21, LocalWritePerMfma:0.825 */
/*  mfmaIndex:15  */
/* localReadsVacancy: latencyLeft 13 */
s_waitcnt lgkmcnt(0)                               // lgkmcnt=0 vmcnt=-1wait for prior local read local write old=0, new=0 newLW=0 newLR=0
v_mfma_i32_32x32x8i8 a[0+0:15+0], v[vgprValuA_X4_I0+0+1+0], v[vgprValuB_X4_I0+0+1+0], a[0:15]
/*  mfmaIndex:16  */
/* localReadsVacancy: latencyLeft 13 */
v_mfma_i32_32x32x8i8 a[16+0:31+0], v[vgprValuA_X4_I0+0+1+0], v[vgprValuB_X4_I0+4+1+0], a[16:31]
/*  mfmaIndex:17  */
/* localReadsVacancy: latencyLeft 13 */
v_mfma_i32_32x32x8i8 a[32+0:47+0], v[vgprValuA_X4_I0+0+1+0], v[vgprValuB_X4_I0+8+1+0], a[32:47]
/* numPrefetchIter=0 */
/* dataAtIterA=0 numReadsIterA=1 skipReadsIterA=0 readsPerIterA=1 */
/* dataAtIterB=0 numReadsIterB=1 skipReadsIterB=0 readsPerIterB=3 */
	;; [unrolled: 19-line block ×3, first 2 shown]


/* iter 7 (last unrolled loop) */

/*  grEndMfmaIndex:0, lwStartMfmaIndex:20, lwEndMfmaIndex:20  */
/*  numMfmaForLR:2, barrierMfmaIndex:21, LocalWritePerMfma:0.825 */
/*  mfmaIndex:21  */
s_waitcnt lgkmcnt(0)                               // lgkmcnt=0 vmcnt=-1wait for prior local read local write old=0, new=0 newLW=0 newLR=0
v_mfma_i32_32x32x8i8 a[0+0:15+0], v[vgprValuA_X4_I0+0+3+0], v[vgprValuB_X4_I0+0+3+0], a[0:15]
/*  mfmaIndex:22  */
v_mfma_i32_32x32x8i8 a[16+0:31+0], v[vgprValuA_X4_I0+0+3+0], v[vgprValuB_X4_I0+4+3+0], a[16:31]
/*  mfmaIndex:23  */
v_mfma_i32_32x32x8i8 a[32+0:47+0], v[vgprValuA_X4_I0+0+3+0], v[vgprValuB_X4_I0+8+3+0], a[32:47]
/* numPrefetchIter=0 */
/* dataAtIterA=0 numReadsIterA=1 skipReadsIterA=0 readsPerIterA=1 */
/* dataAtIterB=0 numReadsIterB=1 skipReadsIterB=0 readsPerIterB=3 */

PrefetchGlobalLastIterEnd_5:


/******************************************/
/* Tail Loop                              */
/******************************************/


/* local write reset offsets a */

v_and_b32 v[vgprLocalWriteAddrA], 0xf03fff, v[vgprLocalWriteAddrA] // reset to Red


/* local write reset offsets b */

v_and_b32 v[vgprLocalWriteAddrB], 0xf03fff, v[vgprLocalWriteAddrB] // reset to Red


//numIterL = (((sizeL % LOCAL_DEPTHU) + LOCAL_SPLITU - 1) / LOCAL_SPLITU)
s_and_b32 s[sgprLoopCounterL], 63, s[sgprSizesSum+0] // s[sgprLoopCounterL] = s[sgprSizesSum+0] % 64
s_cmp_eq_u32 s[sgprLoopCounterL], 0x0              // numIterL == 0
s_cbranch_scc1 SkipTailLoopL_8                     // skip to end of tail loop b/c numIter==0
s_mov_b32 s[sgprOrigLoopCounter], 0                // repurpose to count each localRead increment


/* Update M0 for DTLDS */


	;; [unrolled: 1-line block ×3, first 2 shown]
/* global read a */

/* g2l=0, load component 0 */
_buffer_load_d16_u8 v[vgprG2LA+0+0], v[vgprGlobalReadOffsetA+0], s[sgprSrdA:sgprSrdA+3], 0, offen offset:0 // load one buffer value
/* g2l=0, load component 1 */
_buffer_load_d16_u8 v53, v[vgprGlobalReadOffsetA+0], s[sgprSrdA:sgprSrdA+3], 0, offen offset:1 // load one buffer value
/* g2l=0, load component 2 */
_buffer_load_d16_hi_u8 v54, v[vgprGlobalReadOffsetA+0], s[sgprSrdA:sgprSrdA+3], 0, offen offset:2 // load one buffer value
/* g2l=0, load component 3 */
_buffer_load_d16_hi_u8 v55, v[vgprGlobalReadOffsetA+0], s[sgprSrdA:sgprSrdA+3], 0, offen offset:3 // load one buffer value
s_waitcnt vmcnt(2)
v_lshlrev_b32 v53, 0x8, v53                        // shift left to higher 8 bits
v_or_b32 v[vgprG2LA+0+0], v[vgprG2LA+0+0], v53     // pack a sub 8-bit with dest
s_waitcnt vmcnt(1)
v_or_b32 v[vgprG2LA+0+0], v[vgprG2LA+0+0], v54     // pack a sub 8-bit with dest
s_waitcnt vmcnt(0)
v_lshlrev_b32 v55, 0x8, v55                        // shift left to higher 8 bits
v_or_b32 v[vgprG2LA+0+0], v[vgprG2LA+0+0], v55     // pack a sub 8-bit with dest
/* g2l=1, load component 0 */
_buffer_load_d16_u8 v[vgprG2LA+1+0], v[vgprGlobalReadOffsetA+0], s[sgprSrdA:sgprSrdA+3], s[sgprScalarGlobalReadOffsetA+0], offen offset:0 // load one buffer value
/* g2l=1, load component 1 */
_buffer_load_d16_u8 v53, v[vgprGlobalReadOffsetA+0], s[sgprSrdA:sgprSrdA+3], s[sgprScalarGlobalReadOffsetA+0], offen offset:1 // load one buffer value
/* g2l=1, load component 2 */
_buffer_load_d16_hi_u8 v54, v[vgprGlobalReadOffsetA+0], s[sgprSrdA:sgprSrdA+3], s[sgprScalarGlobalReadOffsetA+0], offen offset:2 // load one buffer value
/* g2l=1, load component 3 */
_buffer_load_d16_hi_u8 v55, v[vgprGlobalReadOffsetA+0], s[sgprSrdA:sgprSrdA+3], s[sgprScalarGlobalReadOffsetA+0], offen offset:3 // load one buffer value
s_waitcnt vmcnt(2)
v_lshlrev_b32 v53, 0x8, v53                        // shift left to higher 8 bits
v_or_b32 v[vgprG2LA+1+0], v[vgprG2LA+1+0], v53     // pack a sub 8-bit with dest
s_waitcnt vmcnt(1)
v_or_b32 v[vgprG2LA+1+0], v[vgprG2LA+1+0], v54     // pack a sub 8-bit with dest
s_waitcnt vmcnt(0)
v_lshlrev_b32 v55, 0x8, v55                        // shift left to higher 8 bits
v_or_b32 v[vgprG2LA+1+0], v[vgprG2LA+1+0], v55     // pack a sub 8-bit with dest
/* g2l=2, load component 0 */
_buffer_load_d16_u8 v[vgprG2LA+2+0], v[vgprGlobalReadOffsetA+0], s[sgprSrdA:sgprSrdA+3], s[sgprScalarGlobalReadOffsetA+1], offen offset:0 // load one buffer value
/* g2l=2, load component 1 */
_buffer_load_d16_u8 v53, v[vgprGlobalReadOffsetA+0], s[sgprSrdA:sgprSrdA+3], s[sgprScalarGlobalReadOffsetA+1], offen offset:1 // load one buffer value
/* g2l=2, load component 2 */
_buffer_load_d16_hi_u8 v54, v[vgprGlobalReadOffsetA+0], s[sgprSrdA:sgprSrdA+3], s[sgprScalarGlobalReadOffsetA+1], offen offset:2 // load one buffer value
/* g2l=2, load component 3 */
_buffer_load_d16_hi_u8 v55, v[vgprGlobalReadOffsetA+0], s[sgprSrdA:sgprSrdA+3], s[sgprScalarGlobalReadOffsetA+1], offen offset:3 // load one buffer value
	;; [unrolled: 16-line block ×7, first 2 shown]
s_waitcnt vmcnt(2)
v_lshlrev_b32 v53, 0x8, v53                        // shift left to higher 8 bits
v_or_b32 v[vgprG2LA+7+0], v[vgprG2LA+7+0], v53     // pack a sub 8-bit with dest
s_waitcnt vmcnt(1)
v_or_b32 v[vgprG2LA+7+0], v[vgprG2LA+7+0], v54     // pack a sub 8-bit with dest
s_waitcnt vmcnt(0)
v_lshlrev_b32 v55, 0x8, v55                        // shift left to higher 8 bits
v_or_b32 v[vgprG2LA+7+0], v[vgprG2LA+7+0], v55     // pack a sub 8-bit with dest


/* Update M0 for DTLDS */


	;; [unrolled: 1-line block ×3, first 2 shown]
/* global read b */

/* g2l=0, load component 0 */
_buffer_load_d16_u8 v[vgprG2LB+0+0], v[vgprGlobalReadOffsetB+0], s[sgprSrdB:sgprSrdB+3], 0, offen offset:0 // load one buffer value
/* g2l=0, load component 1 */
_buffer_load_d16_u8 v53, v[vgprGlobalReadOffsetB+0], s[sgprSrdB:sgprSrdB+3], 0, offen offset:1 // load one buffer value
/* g2l=0, load component 2 */
_buffer_load_d16_hi_u8 v54, v[vgprGlobalReadOffsetB+0], s[sgprSrdB:sgprSrdB+3], 0, offen offset:2 // load one buffer value
/* g2l=0, load component 3 */
_buffer_load_d16_hi_u8 v55, v[vgprGlobalReadOffsetB+0], s[sgprSrdB:sgprSrdB+3], 0, offen offset:3 // load one buffer value
s_waitcnt vmcnt(2)
v_lshlrev_b32 v53, 0x8, v53                        // shift left to higher 8 bits
v_or_b32 v[vgprG2LB+0+0], v[vgprG2LB+0+0], v53     // pack a sub 8-bit with dest
s_waitcnt vmcnt(1)
v_or_b32 v[vgprG2LB+0+0], v[vgprG2LB+0+0], v54     // pack a sub 8-bit with dest
s_waitcnt vmcnt(0)
v_lshlrev_b32 v55, 0x8, v55                        // shift left to higher 8 bits
v_or_b32 v[vgprG2LB+0+0], v[vgprG2LB+0+0], v55     // pack a sub 8-bit with dest
/* g2l=1, load component 0 */
_buffer_load_d16_u8 v[vgprG2LB+1+0], v[vgprGlobalReadOffsetB+0], s[sgprSrdB:sgprSrdB+3], s[sgprScalarGlobalReadOffsetB+0], offen offset:0 // load one buffer value
/* g2l=1, load component 1 */
_buffer_load_d16_u8 v53, v[vgprGlobalReadOffsetB+0], s[sgprSrdB:sgprSrdB+3], s[sgprScalarGlobalReadOffsetB+0], offen offset:1 // load one buffer value
/* g2l=1, load component 2 */
_buffer_load_d16_hi_u8 v54, v[vgprGlobalReadOffsetB+0], s[sgprSrdB:sgprSrdB+3], s[sgprScalarGlobalReadOffsetB+0], offen offset:2 // load one buffer value
/* g2l=1, load component 3 */
_buffer_load_d16_hi_u8 v55, v[vgprGlobalReadOffsetB+0], s[sgprSrdB:sgprSrdB+3], s[sgprScalarGlobalReadOffsetB+0], offen offset:3 // load one buffer value
s_waitcnt vmcnt(2)
v_lshlrev_b32 v53, 0x8, v53                        // shift left to higher 8 bits
v_or_b32 v[vgprG2LB+1+0], v[vgprG2LB+1+0], v53     // pack a sub 8-bit with dest
s_waitcnt vmcnt(1)
v_or_b32 v[vgprG2LB+1+0], v[vgprG2LB+1+0], v54     // pack a sub 8-bit with dest
s_waitcnt vmcnt(0)
v_lshlrev_b32 v55, 0x8, v55                        // shift left to higher 8 bits
v_or_b32 v[vgprG2LB+1+0], v[vgprG2LB+1+0], v55     // pack a sub 8-bit with dest
/* g2l=2, load component 0 */
_buffer_load_d16_u8 v[vgprG2LB+2+0], v[vgprGlobalReadOffsetB+0], s[sgprSrdB:sgprSrdB+3], s[sgprScalarGlobalReadOffsetB+1], offen offset:0 // load one buffer value
/* g2l=2, load component 1 */
_buffer_load_d16_u8 v53, v[vgprGlobalReadOffsetB+0], s[sgprSrdB:sgprSrdB+3], s[sgprScalarGlobalReadOffsetB+1], offen offset:1 // load one buffer value
/* g2l=2, load component 2 */
_buffer_load_d16_hi_u8 v54, v[vgprGlobalReadOffsetB+0], s[sgprSrdB:sgprSrdB+3], s[sgprScalarGlobalReadOffsetB+1], offen offset:2 // load one buffer value
/* g2l=2, load component 3 */
_buffer_load_d16_hi_u8 v55, v[vgprGlobalReadOffsetB+0], s[sgprSrdB:sgprSrdB+3], s[sgprScalarGlobalReadOffsetB+1], offen offset:3 // load one buffer value
	;; [unrolled: 16-line block ×5, first 2 shown]
s_waitcnt vmcnt(2)
v_lshlrev_b32 v53, 0x8, v53                        // shift left to higher 8 bits
v_or_b32 v[vgprG2LB+5+0], v[vgprG2LB+5+0], v53     // pack a sub 8-bit with dest
s_waitcnt vmcnt(1)
v_or_b32 v[vgprG2LB+5+0], v[vgprG2LB+5+0], v54     // pack a sub 8-bit with dest
s_waitcnt vmcnt(0)
v_lshlrev_b32 v55, 0x8, v55                        // shift left to higher 8 bits
v_or_b32 v[vgprG2LB+5+0], v[vgprG2LB+5+0], v55     // pack a sub 8-bit with dest

s_waitcnt vmcnt(0)                                 // lgkmcnt=-1 vmcnt=02wait for global read

// Skip force waitcnt0
s_barrier //


/* Done global A/B reads */


	;; [unrolled: 1-line block ×4, first 2 shown]
/* local write a */

_ds_store_b32 v[vgprLocalWriteAddrA], v[vgprG2LA+0] offset:0 // lwoA_0_0_0_0 = (0*LSCA)*(MT0I+PAD) + (0*LSPA) = 0
_ds_store_b32 v[vgprLocalWriteAddrA], v[vgprG2LA+1] offset:288 // lwoA_0_0_1_0 = (0*LSCA)*(MT0I+PAD) + (1*LSPA) = 288
_ds_store_b32 v[vgprLocalWriteAddrA], v[vgprG2LA+2] offset:576 // lwoA_0_0_2_0 = (0*LSCA)*(MT0I+PAD) + (2*LSPA) = 576
_ds_store_b32 v[vgprLocalWriteAddrA], v[vgprG2LA+3] offset:864 // lwoA_0_0_3_0 = (0*LSCA)*(MT0I+PAD) + (3*LSPA) = 864
_ds_store_b32 v[vgprLocalWriteAddrA], v[vgprG2LA+4] offset:1152 // lwoA_0_0_4_0 = (0*LSCA)*(MT0I+PAD) + (4*LSPA) = 1152
_ds_store_b32 v[vgprLocalWriteAddrA], v[vgprG2LA+5] offset:1440 // lwoA_0_0_5_0 = (0*LSCA)*(MT0I+PAD) + (5*LSPA) = 1440
_ds_store_b32 v[vgprLocalWriteAddrA], v[vgprG2LA+6] offset:1728 // lwoA_0_0_6_0 = (0*LSCA)*(MT0I+PAD) + (6*LSPA) = 1728
_ds_store_b32 v[vgprLocalWriteAddrA], v[vgprG2LA+7] offset:2016 // lwoA_0_0_7_0 = (0*LSCA)*(MT0I+PAD) + (7*LSPA) = 2016


/* local write b */

_ds_store_b32 v[vgprLocalWriteAddrB], v[vgprG2LB+0] offset:0 // lwoB_0_0_0_0 = (0*LSCB)*(MT1J+PAD) + (0*LSPB) = 0
_ds_store_b32 v[vgprLocalWriteAddrB], v[vgprG2LB+1] offset:288 // lwoB_0_0_1_0 = (0*LSCB)*(MT1J+PAD) + (1*LSPB) = 288
_ds_store_b32 v[vgprLocalWriteAddrB], v[vgprG2LB+2] offset:576 // lwoB_0_0_2_0 = (0*LSCB)*(MT1J+PAD) + (2*LSPB) = 576
_ds_store_b32 v[vgprLocalWriteAddrB], v[vgprG2LB+3] offset:864 // lwoB_0_0_3_0 = (0*LSCB)*(MT1J+PAD) + (3*LSPB) = 864
_ds_store_b32 v[vgprLocalWriteAddrB], v[vgprG2LB+4] offset:1152 // lwoB_0_0_4_0 = (0*LSCB)*(MT1J+PAD) + (4*LSPB) = 1152
_ds_store_b32 v[vgprLocalWriteAddrB], v[vgprG2LB+5] offset:1440 // lwoB_0_0_5_0 = (0*LSCB)*(MT1J+PAD) + (5*LSPB) = 1440


/* Recalc local read offsets */

/*lr0I*/
v_and_b32 v54, 63, v[vgprSerial]                   // 0. thread id in wave: wtid = tid % wavelength(64)
v_and_b32 v53, 31, v54                             // 1. N offset: nIdx = wtid % MI_N(32)
v_lshlrev_b32 v53, 0x6, v53                        // 1. N offset: nOffset = nIdx * nStride(64)
                                                   // 2. block offset: bnIdx = bnIdx % num1DBlocks(1) is 0. do nothing
                                                   // 4. apply VectorWidth: bnOffset = bnOffset * vw(1) (multiplier is 1, do nothing)
v_lshrrev_b32 v54, 5, v54                          // 5. K offset: kIdx = wtid / (MIN(32) * MIBB(1))
v_lshlrev_b32 v54, 0x2, v54                        // 5. K offset: lrKOffset = kIdx * mStride(4)
_v_add_u32 v53, v54, v53                           // 6. offset in wave: lrOffset = bnOffset + lrKOffset
v_lshrrev_b32 v55, 6, v[vgprSerial]                // 7. wave offset in N dimen: wtid = tid / dividedForWaveId(64)
v_and_b32 v54, 3, v55                              // 7. wave offset in M dimen: wtid0 = wtid / num1DWaves(4)
v_lshlrev_b32 v54, 0xb, v54                        // 7. wave offset in M dimen: wOffset = wtid0 * W0Stride(2048)
_v_add_u32 v53, v54, v53                           // 8. final local read offset: flrOffset = lrOffset + WOffset
/*lr1J*/
v_and_b32 v55, 63, v[vgprSerial]                   // 0. thread id in wave: wtid = tid % wavelength(64)
v_and_b32 v54, 31, v55                             // 1. N offset: nIdx = wtid % MI_N(32)
v_lshlrev_b32 v54, 0x6, v54                        // 1. N offset: nOffset = nIdx * nStride(64)
                                                   // 2. block offset: bnIdx = bnIdx % num1DBlocks(1) is 0. do nothing
                                                   // 4. apply VectorWidth: bnOffset = bnOffset * vw(1) (multiplier is 1, do nothing)
v_lshrrev_b32 v55, 5, v55                          // 5. K offset: kIdx = wtid / (MIN(32) * MIBB(1))
v_lshlrev_b32 v55, 0x2, v55                        // 5. K offset: lrKOffset = kIdx * mStride(4)
_v_add_u32 v54, v55, v54                           // 6. offset in wave: lrOffset = bnOffset + lrKOffset
v_lshlrev_b32 v[vgprLocalReadAddrA], 0x0, v53      // Final Offset: offset = (lro0)*bpe
v_lshrrev_b32 v53, 7, v[vgprLocalReadAddrA]        // Final Offset: padding 16 per block 128
v_lshlrev_b32 v53, 0x4, v53                        // Final Offset: padding 16 per block 128
_v_add_u32 v[vgprLocalReadAddrA], v53, v[vgprLocalReadAddrA] // Final Offset: add padding 16 per block 128
/* N/A */
v_lshlrev_b32 v[vgprLocalReadAddrB], 0x0, v54      // Final Offset: offset = (lro1)*bpe
v_lshrrev_b32 v53, 7, v[vgprLocalReadAddrB]        // Final Offset: padding 16 per block 128
v_lshlrev_b32 v53, 0x4, v53                        // Final Offset: padding 16 per block 128
_v_add_u32 v[vgprLocalReadAddrB], v53, v[vgprLocalReadAddrB] // Final Offset: add padding 16 per block 128
_v_add_co_u32 v[vgprLocalReadAddrB+0], vcc, 0x2400, v[vgprLocalReadAddrB+0] //  += LdsOffsetB (lower)

s_waitcnt lgkmcnt(0)                               // lgkmcnt=0 vmcnt=-15wait for local write

// Skip force waitcnt0
s_barrier //


/* local read reset offsets a */


/* localReadResetOffsets */
/* handled internally */
v_and_b32 v[vgprLocalReadAddrA], 0x3fff, v[vgprLocalReadAddrA] // reset Red,Blk -> Red


/* local read reset offsets b */


/* localReadResetOffsets */
/* handled internally */
v_and_b32 v[vgprLocalReadAddrB], 0x3fff, v[vgprLocalReadAddrB] // reset Red,Blk -> Red


/* local read init pointers a */


/* localReadInitPointers */


/* local read init pointers b */


/* localReadInitPointers */


/* tail loop: macs */

TailLoopBeginL_6:


/* tail loop unroll iter 0 */


/* local read a */

_ds_load_b32 v[vgprValuA_X0_I0+0], v[vgprLocalReadAddrA] offset:0 // L -> Reg lro=0 swapByteOffset=0 ti=128 vIdx=0 rIdx=0 oIdx=0 buffer=0 iui=0


/* local read b */

_ds_load_b32 v[vgprValuB_X0_I0+0], v[vgprLocalReadAddrB] offset:0 // L -> Reg lro=0 swapByteOffset=0 ti=32 vIdx=0 rIdx=0 oIdx=0 buffer=0 iui=0
_ds_load_b32 v[vgprValuB_X0_I0+1], v[vgprLocalReadAddrB] offset:2304 // L -> Reg lro=0 swapByteOffset=0 ti=32 vIdx=1 rIdx=0 oIdx=0 buffer=0 iui=0
	;; [unrolled: 1-line block ×3, first 2 shown]


/* local read inc a */

s_mov_b32 s52, 0x8                                 // inc
_v_add_co_u32 v[vgprLocalReadAddrA], vcc, s52, v[vgprLocalReadAddrA] // lrA += 8 (LSU*bpe)


/* local read inc b */

s_mov_b32 s52, 0x8                                 // inc
_v_add_co_u32 v[vgprLocalReadAddrB], vcc, s52, v[vgprLocalReadAddrB] // lrB += 8 (LSU*bpe)

s_waitcnt lgkmcnt(0)                               // lgkmcnt=0 vmcnt=-14wait for local read


	;; [unrolled: 1-line block ×3, first 2 shown]
/* tail loop mfma iter 0: numReadsIterCoalescedA=1, numReadsIterCoalescedB=1 */
v_and_b32 v53, 63, v[vgprSerial]                   // v53 = v[vgprSerial] % 64
v_lshrrev_b32 v53, 5, v53                          // v53 = v53 / 32
v_lshlrev_b32 v53, 0x2, v53                        // v53 = v53 * 4
v_cmp_ge_i32 s[62:63], v53, s[sgprLoopCounterL]    // check K index >= Size L
v_cndmask_b32 v[vgprValuA_X0_I0+0+0+0+0], v[vgprValuA_X0_I0+0+0+0+0], 0x0, s[62:63] // set 0 if K_idx >= sizeL
v_cndmask_b32 v[vgprValuB_X0_I0+0+0+0+0], v[vgprValuB_X0_I0+0+0+0+0], 0x0, s[62:63] // set 0 if K_idx >= sizeL
v_cndmask_b32 v[vgprValuB_X0_I0+1+0+0+0], v[vgprValuB_X0_I0+1+0+0+0], 0x0, s[62:63] // set 0 if K_idx >= sizeL
	;; [unrolled: 1-line block ×3, first 2 shown]
_v_sub_u32 v53, s[sgprLoopCounterL], v53           // get distance between size and k index
v_cmp_lt_i32 s[62:63], v53, 4                      // set partial 0 if distance less than input per thread
s_and_b32 s64, s[sgprLoopCounterL], 3              // get inputs for edge thread
s_sub_u32 s64, 4, s64                              // use shift to fill 0 for outside element
s_lshl_b32 s64, s64, 3                             // use shift to fill 0 for outside element
v_mov_b32 v54, -1                                  // set 0xffffffff
v_lshrrev_b32 v54, s64, v54                        // rshift mask for partial k
v_cndmask_b32 v54, -1, v54, s[62:63]               // select shifted mask for partial k
v_and_b32 v[vgprValuA_X0_I0+0+0+0+0], v[vgprValuA_X0_I0+0+0+0+0], v54 // 
v_and_b32 v[vgprValuB_X0_I0+0+0+0+0], v[vgprValuB_X0_I0+0+0+0+0], v54 // 
v_and_b32 v[vgprValuB_X0_I0+1+0+0+0], v[vgprValuB_X0_I0+1+0+0+0], v54 // 
v_and_b32 v[vgprValuB_X0_I0+2+0+0+0], v[vgprValuB_X0_I0+2+0+0+0], v54 // 
s_nop 1
v_mfma_i32_32x32x8i8 a[0+0:15+0], v[vgprValuA_X0_I0+0+0+0], v[vgprValuB_X0_I0+0+0+0], a[0:15]
v_mfma_i32_32x32x8i8 a[16+0:31+0], v[vgprValuA_X0_I0+0+0+0], v[vgprValuB_X0_I0+1+0+0], a[16:31]
	;; [unrolled: 1-line block ×3, first 2 shown]


/* closeLoop loopL finalLoop=0 tailLoop=1 */
s_sub_i32 s[sgprLoopCounterL], s[sgprLoopCounterL], 0x8 // dec counterL (tailLoop)
s_add_u32 s[sgprOrigLoopCounter], s[sgprOrigLoopCounter], 0x8 // inc counterL
s_cmp_le_i32 s[sgprLoopCounterL], 0x0              // counterL<=0
s_cbranch_scc1 TailLoopEndL_7                      // exit LoopL


/* tail loop unroll iter 1 */


/* local read a */

_ds_load_b32 v[vgprValuA_X1_I0+0], v[vgprLocalReadAddrA] offset:0 // L -> Reg lro=0 swapByteOffset=0 ti=128 vIdx=0 rIdx=0 oIdx=0 buffer=1 iui=0


/* local read b */

_ds_load_b32 v[vgprValuB_X1_I0+0], v[vgprLocalReadAddrB] offset:0 // L -> Reg lro=0 swapByteOffset=0 ti=32 vIdx=0 rIdx=0 oIdx=0 buffer=1 iui=0
_ds_load_b32 v[vgprValuB_X1_I0+1], v[vgprLocalReadAddrB] offset:2304 // L -> Reg lro=0 swapByteOffset=0 ti=32 vIdx=1 rIdx=0 oIdx=0 buffer=1 iui=0
	;; [unrolled: 1-line block ×3, first 2 shown]


/* local read inc a */

s_mov_b32 s52, 0x8                                 // inc
_v_add_co_u32 v[vgprLocalReadAddrA], vcc, s52, v[vgprLocalReadAddrA] // lrA += 8 (LSU*bpe)


/* local read inc b */

s_mov_b32 s52, 0x8                                 // inc
_v_add_co_u32 v[vgprLocalReadAddrB], vcc, s52, v[vgprLocalReadAddrB] // lrB += 8 (LSU*bpe)

s_waitcnt lgkmcnt(0)                               // lgkmcnt=0 vmcnt=-14wait for local read


	;; [unrolled: 1-line block ×3, first 2 shown]
/* tail loop mfma iter 1: numReadsIterCoalescedA=1, numReadsIterCoalescedB=1 */
v_and_b32 v53, 63, v[vgprSerial]                   // v53 = v[vgprSerial] % 64
v_lshrrev_b32 v53, 5, v53                          // v53 = v53 / 32
v_lshlrev_b32 v53, 0x2, v53                        // v53 = v53 * 4
v_cmp_ge_i32 s[62:63], v53, s[sgprLoopCounterL]    // check K index >= Size L
v_cndmask_b32 v[vgprValuA_X1_I0+0+0+0+0], v[vgprValuA_X1_I0+0+0+0+0], 0x0, s[62:63] // set 0 if K_idx >= sizeL
v_cndmask_b32 v[vgprValuB_X1_I0+0+0+0+0], v[vgprValuB_X1_I0+0+0+0+0], 0x0, s[62:63] // set 0 if K_idx >= sizeL
v_cndmask_b32 v[vgprValuB_X1_I0+1+0+0+0], v[vgprValuB_X1_I0+1+0+0+0], 0x0, s[62:63] // set 0 if K_idx >= sizeL
	;; [unrolled: 1-line block ×3, first 2 shown]
_v_sub_u32 v53, s[sgprLoopCounterL], v53           // get distance between size and k index
v_cmp_lt_i32 s[62:63], v53, 4                      // set partial 0 if distance less than input per thread
s_and_b32 s64, s[sgprLoopCounterL], 3              // get inputs for edge thread
s_sub_u32 s64, 4, s64                              // use shift to fill 0 for outside element
s_lshl_b32 s64, s64, 3                             // use shift to fill 0 for outside element
v_mov_b32 v54, -1                                  // set 0xffffffff
v_lshrrev_b32 v54, s64, v54                        // rshift mask for partial k
v_cndmask_b32 v54, -1, v54, s[62:63]               // select shifted mask for partial k
v_and_b32 v[vgprValuA_X1_I0+0+0+0+0], v[vgprValuA_X1_I0+0+0+0+0], v54 // 
v_and_b32 v[vgprValuB_X1_I0+0+0+0+0], v[vgprValuB_X1_I0+0+0+0+0], v54 // 
v_and_b32 v[vgprValuB_X1_I0+1+0+0+0], v[vgprValuB_X1_I0+1+0+0+0], v54 // 
	;; [unrolled: 1-line block ×3, first 2 shown]
s_nop 1
v_mfma_i32_32x32x8i8 a[0+0:15+0], v[vgprValuA_X1_I0+0+0+0], v[vgprValuB_X1_I0+0+0+0], a[0:15]
v_mfma_i32_32x32x8i8 a[16+0:31+0], v[vgprValuA_X1_I0+0+0+0], v[vgprValuB_X1_I0+1+0+0], a[16:31]
	;; [unrolled: 1-line block ×3, first 2 shown]


/* closeLoop loopL finalLoop=0 tailLoop=1 */
s_sub_i32 s[sgprLoopCounterL], s[sgprLoopCounterL], 0x8 // dec counterL (tailLoop)
s_add_u32 s[sgprOrigLoopCounter], s[sgprOrigLoopCounter], 0x8 // inc counterL
s_cmp_le_i32 s[sgprLoopCounterL], 0x0              // counterL<=0
s_cbranch_scc1 TailLoopEndL_7                      // exit LoopL


/* tail loop unroll iter 2 */


/* local read a */

_ds_load_b32 v[vgprValuA_X2_I0+0], v[vgprLocalReadAddrA] offset:0 // L -> Reg lro=0 swapByteOffset=0 ti=128 vIdx=0 rIdx=0 oIdx=0 buffer=2 iui=0


/* local read b */

_ds_load_b32 v[vgprValuB_X2_I0+0], v[vgprLocalReadAddrB] offset:0 // L -> Reg lro=0 swapByteOffset=0 ti=32 vIdx=0 rIdx=0 oIdx=0 buffer=2 iui=0
_ds_load_b32 v[vgprValuB_X2_I0+1], v[vgprLocalReadAddrB] offset:2304 // L -> Reg lro=0 swapByteOffset=0 ti=32 vIdx=1 rIdx=0 oIdx=0 buffer=2 iui=0
	;; [unrolled: 1-line block ×3, first 2 shown]


/* local read inc a */

s_mov_b32 s52, 0x8                                 // inc
_v_add_co_u32 v[vgprLocalReadAddrA], vcc, s52, v[vgprLocalReadAddrA] // lrA += 8 (LSU*bpe)


/* local read inc b */

s_mov_b32 s52, 0x8                                 // inc
_v_add_co_u32 v[vgprLocalReadAddrB], vcc, s52, v[vgprLocalReadAddrB] // lrB += 8 (LSU*bpe)

s_waitcnt lgkmcnt(0)                               // lgkmcnt=0 vmcnt=-14wait for local read


	;; [unrolled: 1-line block ×3, first 2 shown]
/* tail loop mfma iter 2: numReadsIterCoalescedA=1, numReadsIterCoalescedB=1 */
v_and_b32 v53, 63, v[vgprSerial]                   // v53 = v[vgprSerial] % 64
v_lshrrev_b32 v53, 5, v53                          // v53 = v53 / 32
v_lshlrev_b32 v53, 0x2, v53                        // v53 = v53 * 4
v_cmp_ge_i32 s[62:63], v53, s[sgprLoopCounterL]    // check K index >= Size L
v_cndmask_b32 v[vgprValuA_X2_I0+0+0+0+0], v[vgprValuA_X2_I0+0+0+0+0], 0x0, s[62:63] // set 0 if K_idx >= sizeL
v_cndmask_b32 v[vgprValuB_X2_I0+0+0+0+0], v[vgprValuB_X2_I0+0+0+0+0], 0x0, s[62:63] // set 0 if K_idx >= sizeL
v_cndmask_b32 v[vgprValuB_X2_I0+1+0+0+0], v[vgprValuB_X2_I0+1+0+0+0], 0x0, s[62:63] // set 0 if K_idx >= sizeL
	;; [unrolled: 1-line block ×3, first 2 shown]
_v_sub_u32 v53, s[sgprLoopCounterL], v53           // get distance between size and k index
v_cmp_lt_i32 s[62:63], v53, 4                      // set partial 0 if distance less than input per thread
s_and_b32 s64, s[sgprLoopCounterL], 3              // get inputs for edge thread
s_sub_u32 s64, 4, s64                              // use shift to fill 0 for outside element
s_lshl_b32 s64, s64, 3                             // use shift to fill 0 for outside element
v_mov_b32 v54, -1                                  // set 0xffffffff
v_lshrrev_b32 v54, s64, v54                        // rshift mask for partial k
v_cndmask_b32 v54, -1, v54, s[62:63]               // select shifted mask for partial k
v_and_b32 v[vgprValuA_X2_I0+0+0+0+0], v[vgprValuA_X2_I0+0+0+0+0], v54 // 
v_and_b32 v[vgprValuB_X2_I0+0+0+0+0], v[vgprValuB_X2_I0+0+0+0+0], v54 // 
v_and_b32 v[vgprValuB_X2_I0+1+0+0+0], v[vgprValuB_X2_I0+1+0+0+0], v54 // 
	;; [unrolled: 1-line block ×3, first 2 shown]
s_nop 1
v_mfma_i32_32x32x8i8 a[0+0:15+0], v[vgprValuA_X2_I0+0+0+0], v[vgprValuB_X2_I0+0+0+0], a[0:15]
v_mfma_i32_32x32x8i8 a[16+0:31+0], v[vgprValuA_X2_I0+0+0+0], v[vgprValuB_X2_I0+1+0+0], a[16:31]
	;; [unrolled: 1-line block ×3, first 2 shown]


/* closeLoop loopL finalLoop=0 tailLoop=1 */
s_sub_i32 s[sgprLoopCounterL], s[sgprLoopCounterL], 0x8 // dec counterL (tailLoop)
s_add_u32 s[sgprOrigLoopCounter], s[sgprOrigLoopCounter], 0x8 // inc counterL
s_cmp_le_i32 s[sgprLoopCounterL], 0x0              // counterL<=0
s_cbranch_scc1 TailLoopEndL_7                      // exit LoopL


/* tail loop unroll iter 3 */


/* local read a */

_ds_load_b32 v[vgprValuA_X3_I0+0], v[vgprLocalReadAddrA] offset:0 // L -> Reg lro=0 swapByteOffset=0 ti=128 vIdx=0 rIdx=0 oIdx=0 buffer=3 iui=0


/* local read b */

_ds_load_b32 v[vgprValuB_X3_I0+0], v[vgprLocalReadAddrB] offset:0 // L -> Reg lro=0 swapByteOffset=0 ti=32 vIdx=0 rIdx=0 oIdx=0 buffer=3 iui=0
_ds_load_b32 v[vgprValuB_X3_I0+1], v[vgprLocalReadAddrB] offset:2304 // L -> Reg lro=0 swapByteOffset=0 ti=32 vIdx=1 rIdx=0 oIdx=0 buffer=3 iui=0
	;; [unrolled: 1-line block ×3, first 2 shown]


/* local read inc a */

s_mov_b32 s52, 0x8                                 // inc
_v_add_co_u32 v[vgprLocalReadAddrA], vcc, s52, v[vgprLocalReadAddrA] // lrA += 8 (LSU*bpe)


/* local read inc b */

s_mov_b32 s52, 0x8                                 // inc
_v_add_co_u32 v[vgprLocalReadAddrB], vcc, s52, v[vgprLocalReadAddrB] // lrB += 8 (LSU*bpe)

s_waitcnt lgkmcnt(0)                               // lgkmcnt=0 vmcnt=-14wait for local read


	;; [unrolled: 1-line block ×3, first 2 shown]
/* tail loop mfma iter 3: numReadsIterCoalescedA=1, numReadsIterCoalescedB=1 */
v_and_b32 v53, 63, v[vgprSerial]                   // v53 = v[vgprSerial] % 64
v_lshrrev_b32 v53, 5, v53                          // v53 = v53 / 32
v_lshlrev_b32 v53, 0x2, v53                        // v53 = v53 * 4
v_cmp_ge_i32 s[62:63], v53, s[sgprLoopCounterL]    // check K index >= Size L
v_cndmask_b32 v[vgprValuA_X3_I0+0+0+0+0], v[vgprValuA_X3_I0+0+0+0+0], 0x0, s[62:63] // set 0 if K_idx >= sizeL
v_cndmask_b32 v[vgprValuB_X3_I0+0+0+0+0], v[vgprValuB_X3_I0+0+0+0+0], 0x0, s[62:63] // set 0 if K_idx >= sizeL
v_cndmask_b32 v[vgprValuB_X3_I0+1+0+0+0], v[vgprValuB_X3_I0+1+0+0+0], 0x0, s[62:63] // set 0 if K_idx >= sizeL
	;; [unrolled: 1-line block ×3, first 2 shown]
_v_sub_u32 v53, s[sgprLoopCounterL], v53           // get distance between size and k index
v_cmp_lt_i32 s[62:63], v53, 4                      // set partial 0 if distance less than input per thread
s_and_b32 s64, s[sgprLoopCounterL], 3              // get inputs for edge thread
s_sub_u32 s64, 4, s64                              // use shift to fill 0 for outside element
s_lshl_b32 s64, s64, 3                             // use shift to fill 0 for outside element
v_mov_b32 v54, -1                                  // set 0xffffffff
v_lshrrev_b32 v54, s64, v54                        // rshift mask for partial k
v_cndmask_b32 v54, -1, v54, s[62:63]               // select shifted mask for partial k
v_and_b32 v[vgprValuA_X3_I0+0+0+0+0], v[vgprValuA_X3_I0+0+0+0+0], v54 // 
v_and_b32 v[vgprValuB_X3_I0+0+0+0+0], v[vgprValuB_X3_I0+0+0+0+0], v54 // 
v_and_b32 v[vgprValuB_X3_I0+1+0+0+0], v[vgprValuB_X3_I0+1+0+0+0], v54 // 
	;; [unrolled: 1-line block ×3, first 2 shown]
s_nop 1
v_mfma_i32_32x32x8i8 a[0+0:15+0], v[vgprValuA_X3_I0+0+0+0], v[vgprValuB_X3_I0+0+0+0], a[0:15]
v_mfma_i32_32x32x8i8 a[16+0:31+0], v[vgprValuA_X3_I0+0+0+0], v[vgprValuB_X3_I0+1+0+0], a[16:31]
	;; [unrolled: 1-line block ×3, first 2 shown]


/* closeLoop loopL finalLoop=0 tailLoop=1 */
s_sub_i32 s[sgprLoopCounterL], s[sgprLoopCounterL], 0x8 // dec counterL (tailLoop)
s_add_u32 s[sgprOrigLoopCounter], s[sgprOrigLoopCounter], 0x8 // inc counterL
s_cmp_le_i32 s[sgprLoopCounterL], 0x0              // counterL<=0
s_cbranch_scc1 TailLoopEndL_7                      // exit LoopL


/* tail loop unroll iter 4 */


/* local read a */

_ds_load_b32 v[vgprValuA_X4_I0+0], v[vgprLocalReadAddrA] offset:0 // L -> Reg lro=0 swapByteOffset=0 ti=128 vIdx=0 rIdx=0 oIdx=0 buffer=4 iui=0


/* local read b */

_ds_load_b32 v[vgprValuB_X4_I0+0], v[vgprLocalReadAddrB] offset:0 // L -> Reg lro=0 swapByteOffset=0 ti=32 vIdx=0 rIdx=0 oIdx=0 buffer=4 iui=0
_ds_load_b32 v[vgprValuB_X4_I0+1], v[vgprLocalReadAddrB] offset:2304 // L -> Reg lro=0 swapByteOffset=0 ti=32 vIdx=1 rIdx=0 oIdx=0 buffer=4 iui=0
	;; [unrolled: 1-line block ×3, first 2 shown]


/* local read inc a */

s_mov_b32 s52, 0x8                                 // inc
_v_add_co_u32 v[vgprLocalReadAddrA], vcc, s52, v[vgprLocalReadAddrA] // lrA += 8 (LSU*bpe)


/* local read inc b */

s_mov_b32 s52, 0x8                                 // inc
_v_add_co_u32 v[vgprLocalReadAddrB], vcc, s52, v[vgprLocalReadAddrB] // lrB += 8 (LSU*bpe)

s_waitcnt lgkmcnt(0)                               // lgkmcnt=0 vmcnt=-14wait for local read


	;; [unrolled: 1-line block ×3, first 2 shown]
/* tail loop mfma iter 4: numReadsIterCoalescedA=1, numReadsIterCoalescedB=1 */
v_and_b32 v53, 63, v[vgprSerial]                   // v53 = v[vgprSerial] % 64
v_lshrrev_b32 v53, 5, v53                          // v53 = v53 / 32
v_lshlrev_b32 v53, 0x2, v53                        // v53 = v53 * 4
v_cmp_ge_i32 s[62:63], v53, s[sgprLoopCounterL]    // check K index >= Size L
v_cndmask_b32 v[vgprValuA_X4_I0+0+0+0+0], v[vgprValuA_X4_I0+0+0+0+0], 0x0, s[62:63] // set 0 if K_idx >= sizeL
v_cndmask_b32 v[vgprValuB_X4_I0+0+0+0+0], v[vgprValuB_X4_I0+0+0+0+0], 0x0, s[62:63] // set 0 if K_idx >= sizeL
v_cndmask_b32 v[vgprValuB_X4_I0+1+0+0+0], v[vgprValuB_X4_I0+1+0+0+0], 0x0, s[62:63] // set 0 if K_idx >= sizeL
	;; [unrolled: 1-line block ×3, first 2 shown]
_v_sub_u32 v53, s[sgprLoopCounterL], v53           // get distance between size and k index
v_cmp_lt_i32 s[62:63], v53, 4                      // set partial 0 if distance less than input per thread
s_and_b32 s64, s[sgprLoopCounterL], 3              // get inputs for edge thread
s_sub_u32 s64, 4, s64                              // use shift to fill 0 for outside element
s_lshl_b32 s64, s64, 3                             // use shift to fill 0 for outside element
v_mov_b32 v54, -1                                  // set 0xffffffff
v_lshrrev_b32 v54, s64, v54                        // rshift mask for partial k
v_cndmask_b32 v54, -1, v54, s[62:63]               // select shifted mask for partial k
v_and_b32 v[vgprValuA_X4_I0+0+0+0+0], v[vgprValuA_X4_I0+0+0+0+0], v54 // 
v_and_b32 v[vgprValuB_X4_I0+0+0+0+0], v[vgprValuB_X4_I0+0+0+0+0], v54 // 
v_and_b32 v[vgprValuB_X4_I0+1+0+0+0], v[vgprValuB_X4_I0+1+0+0+0], v54 // 
	;; [unrolled: 1-line block ×3, first 2 shown]
s_nop 1
v_mfma_i32_32x32x8i8 a[0+0:15+0], v[vgprValuA_X4_I0+0+0+0], v[vgprValuB_X4_I0+0+0+0], a[0:15]
v_mfma_i32_32x32x8i8 a[16+0:31+0], v[vgprValuA_X4_I0+0+0+0], v[vgprValuB_X4_I0+1+0+0], a[16:31]
	;; [unrolled: 1-line block ×3, first 2 shown]


/* closeLoop loopL finalLoop=0 tailLoop=1 */
s_sub_i32 s[sgprLoopCounterL], s[sgprLoopCounterL], 0x8 // dec counterL (tailLoop)
s_add_u32 s[sgprOrigLoopCounter], s[sgprOrigLoopCounter], 0x8 // inc counterL
s_cmp_le_i32 s[sgprLoopCounterL], 0x0              // counterL<=0
s_cbranch_scc1 TailLoopEndL_7                      // exit LoopL


/* tail loop unroll iter 5 */


/* local read a */

_ds_load_b32 v[vgprValuA_X5_I0+0], v[vgprLocalReadAddrA] offset:0 // L -> Reg lro=0 swapByteOffset=0 ti=128 vIdx=0 rIdx=0 oIdx=0 buffer=5 iui=0


/* local read b */

_ds_load_b32 v[vgprValuB_X5_I0+0], v[vgprLocalReadAddrB] offset:0 // L -> Reg lro=0 swapByteOffset=0 ti=32 vIdx=0 rIdx=0 oIdx=0 buffer=5 iui=0
_ds_load_b32 v[vgprValuB_X5_I0+1], v[vgprLocalReadAddrB] offset:2304 // L -> Reg lro=0 swapByteOffset=0 ti=32 vIdx=1 rIdx=0 oIdx=0 buffer=5 iui=0
	;; [unrolled: 1-line block ×3, first 2 shown]


/* local read inc a */

s_mov_b32 s52, 0x8                                 // inc
_v_add_co_u32 v[vgprLocalReadAddrA], vcc, s52, v[vgprLocalReadAddrA] // lrA += 8 (LSU*bpe)


/* local read inc b */

s_mov_b32 s52, 0x8                                 // inc
_v_add_co_u32 v[vgprLocalReadAddrB], vcc, s52, v[vgprLocalReadAddrB] // lrB += 8 (LSU*bpe)

s_waitcnt lgkmcnt(0)                               // lgkmcnt=0 vmcnt=-14wait for local read


	;; [unrolled: 1-line block ×3, first 2 shown]
/* tail loop mfma iter 5: numReadsIterCoalescedA=1, numReadsIterCoalescedB=1 */
v_and_b32 v53, 63, v[vgprSerial]                   // v53 = v[vgprSerial] % 64
v_lshrrev_b32 v53, 5, v53                          // v53 = v53 / 32
v_lshlrev_b32 v53, 0x2, v53                        // v53 = v53 * 4
v_cmp_ge_i32 s[62:63], v53, s[sgprLoopCounterL]    // check K index >= Size L
v_cndmask_b32 v[vgprValuA_X5_I0+0+0+0+0], v[vgprValuA_X5_I0+0+0+0+0], 0x0, s[62:63] // set 0 if K_idx >= sizeL
v_cndmask_b32 v[vgprValuB_X5_I0+0+0+0+0], v[vgprValuB_X5_I0+0+0+0+0], 0x0, s[62:63] // set 0 if K_idx >= sizeL
v_cndmask_b32 v[vgprValuB_X5_I0+1+0+0+0], v[vgprValuB_X5_I0+1+0+0+0], 0x0, s[62:63] // set 0 if K_idx >= sizeL
	;; [unrolled: 1-line block ×3, first 2 shown]
_v_sub_u32 v53, s[sgprLoopCounterL], v53           // get distance between size and k index
v_cmp_lt_i32 s[62:63], v53, 4                      // set partial 0 if distance less than input per thread
s_and_b32 s64, s[sgprLoopCounterL], 3              // get inputs for edge thread
s_sub_u32 s64, 4, s64                              // use shift to fill 0 for outside element
s_lshl_b32 s64, s64, 3                             // use shift to fill 0 for outside element
v_mov_b32 v54, -1                                  // set 0xffffffff
v_lshrrev_b32 v54, s64, v54                        // rshift mask for partial k
v_cndmask_b32 v54, -1, v54, s[62:63]               // select shifted mask for partial k
v_and_b32 v[vgprValuA_X5_I0+0+0+0+0], v[vgprValuA_X5_I0+0+0+0+0], v54 // 
v_and_b32 v[vgprValuB_X5_I0+0+0+0+0], v[vgprValuB_X5_I0+0+0+0+0], v54 // 
v_and_b32 v[vgprValuB_X5_I0+1+0+0+0], v[vgprValuB_X5_I0+1+0+0+0], v54 // 
	;; [unrolled: 1-line block ×3, first 2 shown]
s_nop 1
v_mfma_i32_32x32x8i8 a[0+0:15+0], v[vgprValuA_X5_I0+0+0+0], v[vgprValuB_X5_I0+0+0+0], a[0:15]
v_mfma_i32_32x32x8i8 a[16+0:31+0], v[vgprValuA_X5_I0+0+0+0], v[vgprValuB_X5_I0+1+0+0], a[16:31]
	;; [unrolled: 1-line block ×3, first 2 shown]


/* closeLoop loopL finalLoop=0 tailLoop=1 */
s_sub_i32 s[sgprLoopCounterL], s[sgprLoopCounterL], 0x8 // dec counterL (tailLoop)
s_add_u32 s[sgprOrigLoopCounter], s[sgprOrigLoopCounter], 0x8 // inc counterL
s_cmp_le_i32 s[sgprLoopCounterL], 0x0              // counterL<=0
s_cbranch_scc1 TailLoopEndL_7                      // exit LoopL


/* tail loop unroll iter 6 */


/* local read a */

_ds_load_b32 v[vgprValuA_X6_I0+0], v[vgprLocalReadAddrA] offset:0 // L -> Reg lro=0 swapByteOffset=0 ti=128 vIdx=0 rIdx=0 oIdx=0 buffer=6 iui=0


/* local read b */

_ds_load_b32 v[vgprValuB_X6_I0+0], v[vgprLocalReadAddrB] offset:0 // L -> Reg lro=0 swapByteOffset=0 ti=32 vIdx=0 rIdx=0 oIdx=0 buffer=6 iui=0
_ds_load_b32 v[vgprValuB_X6_I0+1], v[vgprLocalReadAddrB] offset:2304 // L -> Reg lro=0 swapByteOffset=0 ti=32 vIdx=1 rIdx=0 oIdx=0 buffer=6 iui=0
	;; [unrolled: 1-line block ×3, first 2 shown]


/* local read inc a */

s_mov_b32 s52, 0x8                                 // inc
_v_add_co_u32 v[vgprLocalReadAddrA], vcc, s52, v[vgprLocalReadAddrA] // lrA += 8 (LSU*bpe)


/* local read inc b */

s_mov_b32 s52, 0x8                                 // inc
_v_add_co_u32 v[vgprLocalReadAddrB], vcc, s52, v[vgprLocalReadAddrB] // lrB += 8 (LSU*bpe)

s_waitcnt lgkmcnt(0)                               // lgkmcnt=0 vmcnt=-14wait for local read


	;; [unrolled: 1-line block ×3, first 2 shown]
/* tail loop mfma iter 6: numReadsIterCoalescedA=1, numReadsIterCoalescedB=1 */
v_and_b32 v53, 63, v[vgprSerial]                   // v53 = v[vgprSerial] % 64
v_lshrrev_b32 v53, 5, v53                          // v53 = v53 / 32
v_lshlrev_b32 v53, 0x2, v53                        // v53 = v53 * 4
v_cmp_ge_i32 s[62:63], v53, s[sgprLoopCounterL]    // check K index >= Size L
v_cndmask_b32 v[vgprValuA_X6_I0+0+0+0+0], v[vgprValuA_X6_I0+0+0+0+0], 0x0, s[62:63] // set 0 if K_idx >= sizeL
v_cndmask_b32 v[vgprValuB_X6_I0+0+0+0+0], v[vgprValuB_X6_I0+0+0+0+0], 0x0, s[62:63] // set 0 if K_idx >= sizeL
v_cndmask_b32 v[vgprValuB_X6_I0+1+0+0+0], v[vgprValuB_X6_I0+1+0+0+0], 0x0, s[62:63] // set 0 if K_idx >= sizeL
	;; [unrolled: 1-line block ×3, first 2 shown]
_v_sub_u32 v53, s[sgprLoopCounterL], v53           // get distance between size and k index
v_cmp_lt_i32 s[62:63], v53, 4                      // set partial 0 if distance less than input per thread
s_and_b32 s64, s[sgprLoopCounterL], 3              // get inputs for edge thread
s_sub_u32 s64, 4, s64                              // use shift to fill 0 for outside element
s_lshl_b32 s64, s64, 3                             // use shift to fill 0 for outside element
v_mov_b32 v54, -1                                  // set 0xffffffff
v_lshrrev_b32 v54, s64, v54                        // rshift mask for partial k
v_cndmask_b32 v54, -1, v54, s[62:63]               // select shifted mask for partial k
v_and_b32 v[vgprValuA_X6_I0+0+0+0+0], v[vgprValuA_X6_I0+0+0+0+0], v54 // 
v_and_b32 v[vgprValuB_X6_I0+0+0+0+0], v[vgprValuB_X6_I0+0+0+0+0], v54 // 
v_and_b32 v[vgprValuB_X6_I0+1+0+0+0], v[vgprValuB_X6_I0+1+0+0+0], v54 // 
	;; [unrolled: 1-line block ×3, first 2 shown]
s_nop 1
v_mfma_i32_32x32x8i8 a[0+0:15+0], v[vgprValuA_X6_I0+0+0+0], v[vgprValuB_X6_I0+0+0+0], a[0:15]
v_mfma_i32_32x32x8i8 a[16+0:31+0], v[vgprValuA_X6_I0+0+0+0], v[vgprValuB_X6_I0+1+0+0], a[16:31]
	;; [unrolled: 1-line block ×3, first 2 shown]


/* closeLoop loopL finalLoop=0 tailLoop=1 */
s_sub_i32 s[sgprLoopCounterL], s[sgprLoopCounterL], 0x8 // dec counterL (tailLoop)
s_add_u32 s[sgprOrigLoopCounter], s[sgprOrigLoopCounter], 0x8 // inc counterL
s_cmp_le_i32 s[sgprLoopCounterL], 0x0              // counterL<=0
s_cbranch_scc1 TailLoopEndL_7                      // exit LoopL


/* tail loop unroll iter 7 */


/* local read a */

_ds_load_b32 v[vgprValuA_X7_I0+0], v[vgprLocalReadAddrA] offset:0 // L -> Reg lro=0 swapByteOffset=0 ti=128 vIdx=0 rIdx=0 oIdx=0 buffer=7 iui=0


/* local read b */

_ds_load_b32 v[vgprValuB_X7_I0+0], v[vgprLocalReadAddrB] offset:0 // L -> Reg lro=0 swapByteOffset=0 ti=32 vIdx=0 rIdx=0 oIdx=0 buffer=7 iui=0
_ds_load_b32 v[vgprValuB_X7_I0+1], v[vgprLocalReadAddrB] offset:2304 // L -> Reg lro=0 swapByteOffset=0 ti=32 vIdx=1 rIdx=0 oIdx=0 buffer=7 iui=0
	;; [unrolled: 1-line block ×3, first 2 shown]


/* local read inc a */

s_mov_b32 s52, 0x8                                 // inc
_v_add_co_u32 v[vgprLocalReadAddrA], vcc, s52, v[vgprLocalReadAddrA] // lrA += 8 (LSU*bpe)


/* local read inc b */

s_mov_b32 s52, 0x8                                 // inc
_v_add_co_u32 v[vgprLocalReadAddrB], vcc, s52, v[vgprLocalReadAddrB] // lrB += 8 (LSU*bpe)

s_waitcnt lgkmcnt(0)                               // lgkmcnt=0 vmcnt=-14wait for local read


	;; [unrolled: 1-line block ×3, first 2 shown]
/* tail loop mfma iter 7: numReadsIterCoalescedA=1, numReadsIterCoalescedB=1 */
v_and_b32 v53, 63, v[vgprSerial]                   // v53 = v[vgprSerial] % 64
v_lshrrev_b32 v53, 5, v53                          // v53 = v53 / 32
v_lshlrev_b32 v53, 0x2, v53                        // v53 = v53 * 4
v_cmp_ge_i32 s[62:63], v53, s[sgprLoopCounterL]    // check K index >= Size L
v_cndmask_b32 v[vgprValuA_X7_I0+0+0+0+0], v[vgprValuA_X7_I0+0+0+0+0], 0x0, s[62:63] // set 0 if K_idx >= sizeL
v_cndmask_b32 v[vgprValuB_X7_I0+0+0+0+0], v[vgprValuB_X7_I0+0+0+0+0], 0x0, s[62:63] // set 0 if K_idx >= sizeL
v_cndmask_b32 v[vgprValuB_X7_I0+1+0+0+0], v[vgprValuB_X7_I0+1+0+0+0], 0x0, s[62:63] // set 0 if K_idx >= sizeL
	;; [unrolled: 1-line block ×3, first 2 shown]
_v_sub_u32 v53, s[sgprLoopCounterL], v53           // get distance between size and k index
v_cmp_lt_i32 s[62:63], v53, 4                      // set partial 0 if distance less than input per thread
s_and_b32 s64, s[sgprLoopCounterL], 3              // get inputs for edge thread
s_sub_u32 s64, 4, s64                              // use shift to fill 0 for outside element
s_lshl_b32 s64, s64, 3                             // use shift to fill 0 for outside element
v_mov_b32 v54, -1                                  // set 0xffffffff
v_lshrrev_b32 v54, s64, v54                        // rshift mask for partial k
v_cndmask_b32 v54, -1, v54, s[62:63]               // select shifted mask for partial k
v_and_b32 v[vgprValuA_X7_I0+0+0+0+0], v[vgprValuA_X7_I0+0+0+0+0], v54 // 
v_and_b32 v[vgprValuB_X7_I0+0+0+0+0], v[vgprValuB_X7_I0+0+0+0+0], v54 // 
v_and_b32 v[vgprValuB_X7_I0+1+0+0+0], v[vgprValuB_X7_I0+1+0+0+0], v54 // 
	;; [unrolled: 1-line block ×3, first 2 shown]
s_nop 1
v_mfma_i32_32x32x8i8 a[0+0:15+0], v[vgprValuA_X7_I0+0+0+0], v[vgprValuB_X7_I0+0+0+0], a[0:15]
v_mfma_i32_32x32x8i8 a[16+0:31+0], v[vgprValuA_X7_I0+0+0+0], v[vgprValuB_X7_I0+1+0+0], a[16:31]
	;; [unrolled: 1-line block ×3, first 2 shown]


/* closeLoop loopL finalLoop=1 tailLoop=1 */
s_sub_i32 s[sgprLoopCounterL], s[sgprLoopCounterL], 0x8 // dec counterL (tailLoop)
s_add_u32 s[sgprOrigLoopCounter], s[sgprOrigLoopCounter], 0x8 // inc counterL
s_cmp_le_i32 s[sgprLoopCounterL], 0x0              // counterL<=0
s_cbranch_scc0 TailLoopBeginL_6                    // restart LoopL
TailLoopEndL_7:

SkipTailLoopL_8:

Summation_End_29:
/* endSummation: add vgpr [0...50) to pool */
.set ScalarGlobalReadOffsetA, UNDEF

/* Mapping of Acc register -> C Vgpr register */


	;; [unrolled: 1-line block ×3, first 2 shown]
/* not-LocalSplitU: global write indices */

/* computeStoreVgprs */
v_lshrrev_b32 v4, 6, v[vgprSerial]                 // v4 = v[vgprSerial] / 64
v_lshrrev_b32 v1, 2, v4                            // v1 = v4 / 4
v_mul_lo_u32 v1, 0x20, v1                          // wave coordination offset 1
v_and_b32 v5, 31, v[vgprSerial]                    // v5 = v[vgprSerial] % 32
_v_add_lshl_u32 v1, v5, v1, 0                      // coordination 1 = vwb *(wave_id1 + tid1)
v_mul_lo_u32 v2, v1, s[sgprStrideC1J]              //  offset 1
v_mul_lo_u32 v3, v1, s[sgprStrideD1J]              //  offset 1
v_and_b32 v0, 63, v[vgprSerial]                    // v0 = v[vgprSerial] % 64
v_lshrrev_b32 v0, 5, v0                            // v0 = v0 / 32
v_lshlrev_b32 v0, 0x2, v0                          // thread0 * continuous_output
v_and_b32 v5, 3, v4                                // v5 = v4 % 4
v_mul_lo_u32 v5, 0x20, v5                          // wave coordination offset 0
_v_add_lshl_u32 v0, v5, v0, 0                      // coordination 0 = vwa *(wave_id0 + tid0)
s_mul_i32 s52, 128, s[sgprWorkGroup0]              // wgp0 * MT0
_v_add_u32 v0, s52, v0                             // coord 0 = (tid0/MI_m)*4 + waveG0*MIB_m + MT0*SG0
s_mul_i32 s52, 96, s[sgprWorkGroup1]               // wgp1 * MT1
_v_add_u32 v1, s52, v1                             // coord 1 = (tid0%MI_m) + waveG1*MIB_n + MT1*SG1
/* Store Remap Local Write address */
v_lshrrev_b32 v5, 8, v[vgprSerial]                 // v5 = v[vgprSerial] / 256
v_and_b32 v4, 255, v[vgprSerial]                   // v4 = v[vgprSerial] % 256
v_mul_lo_u32 v13, 0x20, v5                         // coord1 offset of LDS for each Wave
v_and_b32 v5, 0x1f, v[vgprSerial]                  // coord1 offset of LDS for each thread
_v_add_u32 v5, v13, v5                             // coord1 offset in MacroTile
v_mov_b32 v11, 0x84                                // lds stride = MT0 + PAD
v_mul_lo_u32 v9, v5, v11                           // lds coord1 offset = Col-id* lds stride
v_lshrrev_b32 v10, 6, v4                           // v10 = v4 / 64
v_and_b32 v4, 63, v4                               // v4 = v4 % 64
v_lshrrev_b32 v12, 0x5, v4                         // tid / matrixInstN
v_lshlrev_b32 v12, 0x2, v12                        // lds coord0 offset *= 4 (each thread hold 4 element)
v_mad_u32_u24 v12, 32, v10, v12                    // coord0 += waveCoord0 * wave M shape(blockM*MiM)
_v_add_lshl_u32 v7, v9, v12, 0x2                   // local write C address

/* Store Remap Local Read address */
v_lshrrev_b32 v5, 6, v[vgprSerial]                 // v5 = v[vgprSerial] / 64
v_and_b32 v4, 63, v[vgprSerial]                    // v4 = v[vgprSerial] % 64
v_mul_lo_u32 v13, 0x8, v5                          // coord1 offset of LDS for each Wave
v_lshrrev_b32 v10, 0x5, v4                         // tid / nThreadPerCol
_v_add_u32 v6, v13, v10                            // coord1 offset in MacroTile
v_mul_lo_u32 v9, v6, v11                           // lds coord1 offset = Col-id* lds stride
v_and_b32 v12, 0x1f, v4                            // coord0 offset of LDS for each thread
v_lshlrev_b32 v12, 0x2, v12                        // lds coord0 offset *= gwvw (each thread hold gwvw element)
_v_add_lshl_u32 v8, v9, v12, 0x2                   // local read C address

/* Store Remap global write coord0 and coord1 */
v_lshrrev_b32 v5, 8, v[vgprSerial]                 // v5 = v[vgprSerial] / 256
v_and_b32 v4, 255, v[vgprSerial]                   // v4 = v[vgprSerial] % 256
v_mul_lo_u32 v13, 0x20, v5                         // coord1 offset of global memory for each Wave
v_lshrrev_b32 v5, 6, v4                            // v5 = v4 / 64
v_and_b32 v4, 63, v4                               // v4 = v4 % 64
v_mad_u32_u24 v13, 8, v5, v13                      // waveCoord1 += waveCoord0 * MiN / WaveGroupM
v_lshrrev_b32 v10, 0x5, v4                         // tid / nThreadPerCol
_v_add_u32 v6, v13, v10                            // coord1 offset in MacroTile
s_mul_i32 s52, 0x80, s[sgprWorkGroup0]             // s52 = wg0*MT0
_v_add_co_u32 v4, vcc, s52, v12                    // coord0 = coord0 + wg0 * MT0
s_mul_i32 s53, MT1, s[sgprWorkGroup1]              // <- wg1*MT1
_v_add_co_u32 v5, vcc, s53, v6                     // coord1 = tid1*VW + wg1*MT1

// Skip force waitcnt0
s_barrier //StoreRemap Start


/* not-LocalSplitU: global write */

s_cmpk_eq_u32 s[sgprBeta], 0x0                     // Beta == 0
s_cbranch_scc0 GW_Beta_44                          // Branch if Beta is not zero

s_and_b32 s52, 127, s[sgprSizeI]                   // s52 = s[sgprSizeI] % 128
s_add_u32 s53, -0x1, s[sgprNumWorkGroups0]         // 
s_cmp_ge_u32 s[sgprWorkGroup0], s53                // wg0 >= nwg0-1 ?
s_cselect_b32 s52, s52, 0                          // set rMT0
s_cmpk_gt_u32 s52, 0x0                             // rMT0 > 0
s_cbranch_scc1 GW_B0_E1_35                         // jump if edges required
s_mov_b32 s55, 0x0                                 // STATIC_DIV: divisior=96
s_mul_i32 s54, 0x555, s[sgprSizeJ]                 // tmp1 = dividend * magic hi
s_lshl_b64 s[54:55], s[54:55], 0x10                // left shift 16 bits
s_mul_i32 s53, s[sgprSizeJ], 0x5556                // tmp0 = dividend * magic lo
s_add_u32 s54, s53, s54                            // add lo
s_addc_u32 s55, s55, 0x0                           // add hi
s_lshr_b64 s[54:55], s[54:55], 0x21                // tmp1 = (dividend * magic) << shift
s_mov_b32 s53, s54                                 // quotient
s_mul_i32 s54, s53, 0x60                           // quotient*divisor
s_sub_u32 s52, s[sgprSizeJ], s54                   // rReg = dividend - quotient*divisor
s_add_u32 s53, -0x1, s[sgprNumWorkGroups1]         // 
s_cmp_ge_u32 s[sgprWorkGroup1], s53                // wg1 >= nwg1-1
s_cselect_b32 s52, s52, 0                          // set rMT1
s_cmpk_gt_u32 s52, 0x0                             // rMT1 > 0
s_cbranch_scc1 GW_B0_E1_35                         // jump if edges required
GW_B0_E0_32:

/* edge=0, allocate 2 sgpr. perBatchTmpS=2 perBatchMaskS=0 perElementMaskS=0 elementsPerBatch=4 */
/* optSingleColVgpr=1 optSharedColVgpr=0 optSGPRUsage=BufferLoad_Mask optSrdIncForRow=1 */

/******************************************/
/* Global Write Alpha Batch #0 (d1,d0,vc1,vc0) = */
/*    (0,0,0,0:vw4); (0,1,0,0:vw4); (0,2,0,0:vw4); (0,3,0,0:vw4) */
/******************************************/

/* calc coords, apply mask, and issue loads (if necessary) */
/* (d1,vc1,d0,vc0)=(0,0,0,0) */
/* (d1,vc1,d0,vc0)=(0,0,1,0) */
	;; [unrolled: 1-line block ×4, first 2 shown]
_v_add_lshl_u32 v9, v3, v0, 0x2                    // optSingleColVgpr scaleToBpe: sharedAddrVgpr <- cinRowPtr + coord0, scaled by BPE. BSHERE:coord0=0, coord0Vgpr=0
v_accvgpr_read_b32 v[vgprValuC+16], acc0 // copy acc to vreg[0]
v_accvgpr_read_b32 v[vgprValuC+17], acc1 // copy acc to vreg[1]
v_accvgpr_read_b32 v[vgprValuC+18], acc2 // copy acc to vreg[2]
v_accvgpr_read_b32 v[vgprValuC+19], acc3 // copy acc to vreg[3]
v_accvgpr_read_b32 v[vgprValuC+20], acc4 // copy acc to vreg[4]
v_accvgpr_read_b32 v[vgprValuC+21], acc5 // copy acc to vreg[5]
v_accvgpr_read_b32 v[vgprValuC+22], acc6 // copy acc to vreg[6]
v_accvgpr_read_b32 v[vgprValuC+23], acc7 // copy acc to vreg[7]
v_accvgpr_read_b32 v[vgprValuC+24], acc8 // copy acc to vreg[8]
v_accvgpr_read_b32 v[vgprValuC+25], acc9 // copy acc to vreg[9]
v_accvgpr_read_b32 v[vgprValuC+26], acc10 // copy acc to vreg[10]
v_accvgpr_read_b32 v[vgprValuC+27], acc11 // copy acc to vreg[11]
v_accvgpr_read_b32 v[vgprValuC+28], acc12 // copy acc to vreg[12]
v_accvgpr_read_b32 v[vgprValuC+29], acc13 // copy acc to vreg[13]
v_accvgpr_read_b32 v[vgprValuC+30], acc14 // copy acc to vreg[14]
v_accvgpr_read_b32 v[vgprValuC+31], acc15 // copy acc to vreg[15]
s_nop 1                                            // 2 wait states required before reading vgpr

/* rC *= alpha batchElements=[(0, 0, 0, 0), (0, 1, 0, 0), (0, 2, 0, 0), (0, 3, 0, 0)] */
v_mul_lo_u32 v[vgprValuC+16], s[sgprAlpha], v[vgprValuC+16] // *= alpha
v_mul_lo_u32 v[vgprValuC+17], s[sgprAlpha], v[vgprValuC+17] // *= alpha
	;; [unrolled: 1-line block ×16, first 2 shown]

/* apply mask, calc new C and issue writes */
_ds_store_b128 v7, v[16:19], offset:0              // storeRemap lw
_ds_store_b128 v7, v[20:23], offset:32             // storeRemap lw
_ds_store_b128 v7, v[24:27], offset:64             // storeRemap lw
	;; [unrolled: 1-line block ×3, first 2 shown]

/* Handle local read and global write */
s_waitcnt lgkmcnt(0)                               // wait for LDS write
s_barrier //wait all lds write finished

_ds_load_b128 v[16:19], v8, offset:0               // storeRemap lr
_ds_load_b128 v[20:23], v8, offset:1056            // storeRemap lr
_ds_load_b128 v[24:27], v8, offset:2112            // storeRemap lr
	;; [unrolled: 1-line block ×3, first 2 shown]

v_mov_b32 v13, v6                                  // coord1
v_mul_lo_u32 v13, v13, s[sgprStrideD1J]            // coord1 offset =  coord1 * StrideD
_v_add_lshl_u32 v13, v13, v4, 0x2                  // global write D address
s_waitcnt lgkmcnt(3)                               // wait for LDS read
_buffer_store_b128 v[16:19], v13, s[sgprSrdD:sgprSrdD+3], 0, offen, offset:0 // store D
_v_add_u32 v13, v6, 2                              // coord1 += nColPerLoad
v_mul_lo_u32 v13, v13, s[sgprStrideD1J]            // coord1 offset =  coord1 * StrideD
_v_add_lshl_u32 v13, v13, v4, 0x2                  // global write D address
s_waitcnt lgkmcnt(2)                               // wait for LDS read
_buffer_store_b128 v[20:23], v13, s[sgprSrdD:sgprSrdD+3], 0, offen, offset:0 // store D
_v_add_u32 v13, v6, 4                              // coord1 += nColPerLoad
	;; [unrolled: 5-line block ×3, first 2 shown]
v_mul_lo_u32 v13, v13, s[sgprStrideD1J]            // coord1 offset =  coord1 * StrideD
_v_add_lshl_u32 v13, v13, v4, 0x2                  // global write D address
s_waitcnt lgkmcnt(0)                               // wait for LDS read
_buffer_store_b128 v[28:31], v13, s[sgprSrdD:sgprSrdD+3], 0, offen, offset:0 // store D

s_barrier //wait all lds read finished
s_nop 0                                            // 1 wait state required when next inst writes vgprs held by previous dwordx4 store inst
/* optSingleColVgpr=1 optSharedColVgpr=0 optSGPRUsage=BufferLoad_Mask optSrdIncForRow=1 */

/******************************************/
/* Global Write Alpha Batch #1 (d1,d0,vc1,vc0) = */
/*    (1,0,0,0:vw4); (1,1,0,0:vw4); (1,2,0,0:vw4); (1,3,0,0:vw4) */
/******************************************/

/* calc coords, apply mask, and issue loads (if necessary) */
/* (d1,vc1,d0,vc0)=(1,0,0,0) */
/* (d1,vc1,d0,vc0)=(1,0,1,0) */
	;; [unrolled: 1-line block ×4, first 2 shown]
v_accvgpr_read_b32 v[vgprValuC+16], acc16 // copy acc to vreg[16]
v_accvgpr_read_b32 v[vgprValuC+17], acc17 // copy acc to vreg[17]
v_accvgpr_read_b32 v[vgprValuC+18], acc18 // copy acc to vreg[18]
v_accvgpr_read_b32 v[vgprValuC+19], acc19 // copy acc to vreg[19]
v_accvgpr_read_b32 v[vgprValuC+20], acc20 // copy acc to vreg[20]
v_accvgpr_read_b32 v[vgprValuC+21], acc21 // copy acc to vreg[21]
v_accvgpr_read_b32 v[vgprValuC+22], acc22 // copy acc to vreg[22]
v_accvgpr_read_b32 v[vgprValuC+23], acc23 // copy acc to vreg[23]
v_accvgpr_read_b32 v[vgprValuC+24], acc24 // copy acc to vreg[24]
v_accvgpr_read_b32 v[vgprValuC+25], acc25 // copy acc to vreg[25]
v_accvgpr_read_b32 v[vgprValuC+26], acc26 // copy acc to vreg[26]
v_accvgpr_read_b32 v[vgprValuC+27], acc27 // copy acc to vreg[27]
v_accvgpr_read_b32 v[vgprValuC+28], acc28 // copy acc to vreg[28]
v_accvgpr_read_b32 v[vgprValuC+29], acc29 // copy acc to vreg[29]
v_accvgpr_read_b32 v[vgprValuC+30], acc30 // copy acc to vreg[30]
v_accvgpr_read_b32 v[vgprValuC+31], acc31 // copy acc to vreg[31]
s_nop 1                                            // 2 wait states required before reading vgpr

/* rC *= alpha batchElements=[(1, 0, 0, 0), (1, 1, 0, 0), (1, 2, 0, 0), (1, 3, 0, 0)] */
v_mul_lo_u32 v[vgprValuC+16], s[sgprAlpha], v[vgprValuC+16] // *= alpha
v_mul_lo_u32 v[vgprValuC+17], s[sgprAlpha], v[vgprValuC+17] // *= alpha
v_mul_lo_u32 v[vgprValuC+18], s[sgprAlpha], v[vgprValuC+18] // *= alpha
v_mul_lo_u32 v[vgprValuC+19], s[sgprAlpha], v[vgprValuC+19] // *= alpha
v_mul_lo_u32 v[vgprValuC+20], s[sgprAlpha], v[vgprValuC+20] // *= alpha
v_mul_lo_u32 v[vgprValuC+21], s[sgprAlpha], v[vgprValuC+21] // *= alpha
v_mul_lo_u32 v[vgprValuC+22], s[sgprAlpha], v[vgprValuC+22] // *= alpha
v_mul_lo_u32 v[vgprValuC+23], s[sgprAlpha], v[vgprValuC+23] // *= alpha
v_mul_lo_u32 v[vgprValuC+24], s[sgprAlpha], v[vgprValuC+24] // *= alpha
v_mul_lo_u32 v[vgprValuC+25], s[sgprAlpha], v[vgprValuC+25] // *= alpha
v_mul_lo_u32 v[vgprValuC+26], s[sgprAlpha], v[vgprValuC+26] // *= alpha
v_mul_lo_u32 v[vgprValuC+27], s[sgprAlpha], v[vgprValuC+27] // *= alpha
v_mul_lo_u32 v[vgprValuC+28], s[sgprAlpha], v[vgprValuC+28] // *= alpha
v_mul_lo_u32 v[vgprValuC+29], s[sgprAlpha], v[vgprValuC+29] // *= alpha
v_mul_lo_u32 v[vgprValuC+30], s[sgprAlpha], v[vgprValuC+30] // *= alpha
v_mul_lo_u32 v[vgprValuC+31], s[sgprAlpha], v[vgprValuC+31] // *= alpha

/* apply mask, calc new C and issue writes */

/* StoreRemap: shift coord1 address */
s_mul_i32 s52, s[sgprStrideD1J], 128               // scale StrideD *= numRows(32) * bpe
s_add_u32  s[sgprSrdD+0], s[sgprSrdD+0], s52       // incToNextRow: gra SRD += inc(lower)
s_addc_u32  s[sgprSrdD+1], s[sgprSrdD+1], 0        // incToNextRow: gra SRD += inc(upper)
v_mov_b32 v10, 32                                  // set shift rows
_v_add_u32 v5, v5, v10                             // shift storeRemap coord1
_ds_store_b128 v7, v[16:19], offset:0              // storeRemap lw
_ds_store_b128 v7, v[20:23], offset:32             // storeRemap lw
_ds_store_b128 v7, v[24:27], offset:64             // storeRemap lw
	;; [unrolled: 1-line block ×3, first 2 shown]

/* Handle local read and global write */
s_waitcnt lgkmcnt(0)                               // wait for LDS write
s_barrier //wait all lds write finished

_ds_load_b128 v[16:19], v8, offset:0               // storeRemap lr
_ds_load_b128 v[20:23], v8, offset:1056            // storeRemap lr
_ds_load_b128 v[24:27], v8, offset:2112            // storeRemap lr
	;; [unrolled: 1-line block ×3, first 2 shown]

v_mov_b32 v13, v6                                  // coord1
v_mul_lo_u32 v13, v13, s[sgprStrideD1J]            // coord1 offset =  coord1 * StrideD
_v_add_lshl_u32 v13, v13, v4, 0x2                  // global write D address
s_waitcnt lgkmcnt(3)                               // wait for LDS read
_buffer_store_b128 v[16:19], v13, s[sgprSrdD:sgprSrdD+3], 0, offen, offset:0 // store D
_v_add_u32 v13, v6, 2                              // coord1 += nColPerLoad
v_mul_lo_u32 v13, v13, s[sgprStrideD1J]            // coord1 offset =  coord1 * StrideD
_v_add_lshl_u32 v13, v13, v4, 0x2                  // global write D address
s_waitcnt lgkmcnt(2)                               // wait for LDS read
_buffer_store_b128 v[20:23], v13, s[sgprSrdD:sgprSrdD+3], 0, offen, offset:0 // store D
_v_add_u32 v13, v6, 4                              // coord1 += nColPerLoad
	;; [unrolled: 5-line block ×3, first 2 shown]
v_mul_lo_u32 v13, v13, s[sgprStrideD1J]            // coord1 offset =  coord1 * StrideD
_v_add_lshl_u32 v13, v13, v4, 0x2                  // global write D address
s_waitcnt lgkmcnt(0)                               // wait for LDS read
_buffer_store_b128 v[28:31], v13, s[sgprSrdD:sgprSrdD+3], 0, offen, offset:0 // store D

s_barrier //wait all lds read finished
s_nop 0                                            // 1 wait state required when next inst writes vgprs held by previous dwordx4 store inst
/* optSingleColVgpr=1 optSharedColVgpr=0 optSGPRUsage=BufferLoad_Mask optSrdIncForRow=1 */

/******************************************/
/* Global Write Alpha Batch #2 (d1,d0,vc1,vc0) = */
/*    (2,0,0,0:vw4); (2,1,0,0:vw4); (2,2,0,0:vw4); (2,3,0,0:vw4) */
/******************************************/

/* calc coords, apply mask, and issue loads (if necessary) */
/* (d1,vc1,d0,vc0)=(2,0,0,0) */
/* (d1,vc1,d0,vc0)=(2,0,1,0) */
	;; [unrolled: 1-line block ×4, first 2 shown]
v_accvgpr_read_b32 v[vgprValuC+16], acc32 // copy acc to vreg[32]
v_accvgpr_read_b32 v[vgprValuC+17], acc33 // copy acc to vreg[33]
v_accvgpr_read_b32 v[vgprValuC+18], acc34 // copy acc to vreg[34]
v_accvgpr_read_b32 v[vgprValuC+19], acc35 // copy acc to vreg[35]
v_accvgpr_read_b32 v[vgprValuC+20], acc36 // copy acc to vreg[36]
v_accvgpr_read_b32 v[vgprValuC+21], acc37 // copy acc to vreg[37]
v_accvgpr_read_b32 v[vgprValuC+22], acc38 // copy acc to vreg[38]
v_accvgpr_read_b32 v[vgprValuC+23], acc39 // copy acc to vreg[39]
v_accvgpr_read_b32 v[vgprValuC+24], acc40 // copy acc to vreg[40]
v_accvgpr_read_b32 v[vgprValuC+25], acc41 // copy acc to vreg[41]
v_accvgpr_read_b32 v[vgprValuC+26], acc42 // copy acc to vreg[42]
v_accvgpr_read_b32 v[vgprValuC+27], acc43 // copy acc to vreg[43]
v_accvgpr_read_b32 v[vgprValuC+28], acc44 // copy acc to vreg[44]
v_accvgpr_read_b32 v[vgprValuC+29], acc45 // copy acc to vreg[45]
v_accvgpr_read_b32 v[vgprValuC+30], acc46 // copy acc to vreg[46]
v_accvgpr_read_b32 v[vgprValuC+31], acc47 // copy acc to vreg[47]
s_nop 1                                            // 2 wait states required before reading vgpr

/* rC *= alpha batchElements=[(2, 0, 0, 0), (2, 1, 0, 0), (2, 2, 0, 0), (2, 3, 0, 0)] */
v_mul_lo_u32 v[vgprValuC+16], s[sgprAlpha], v[vgprValuC+16] // *= alpha
v_mul_lo_u32 v[vgprValuC+17], s[sgprAlpha], v[vgprValuC+17] // *= alpha
	;; [unrolled: 1-line block ×16, first 2 shown]

/* apply mask, calc new C and issue writes */

/* StoreRemap: shift coord1 address */
s_mul_i32 s52, s[sgprStrideD1J], 128               // scale StrideD *= numRows(32) * bpe
s_add_u32  s[sgprSrdD+0], s[sgprSrdD+0], s52       // incToNextRow: gra SRD += inc(lower)
s_addc_u32  s[sgprSrdD+1], s[sgprSrdD+1], 0        // incToNextRow: gra SRD += inc(upper)
v_mov_b32 v10, 32                                  // set shift rows
_v_add_u32 v5, v5, v10                             // shift storeRemap coord1
_ds_store_b128 v7, v[16:19], offset:0              // storeRemap lw
_ds_store_b128 v7, v[20:23], offset:32             // storeRemap lw
_ds_store_b128 v7, v[24:27], offset:64             // storeRemap lw
	;; [unrolled: 1-line block ×3, first 2 shown]

/* Handle local read and global write */
s_waitcnt lgkmcnt(0)                               // wait for LDS write
s_barrier //wait all lds write finished

_ds_load_b128 v[16:19], v8, offset:0               // storeRemap lr
_ds_load_b128 v[20:23], v8, offset:1056            // storeRemap lr
_ds_load_b128 v[24:27], v8, offset:2112            // storeRemap lr
	;; [unrolled: 1-line block ×3, first 2 shown]

v_mov_b32 v13, v6                                  // coord1
v_mul_lo_u32 v13, v13, s[sgprStrideD1J]            // coord1 offset =  coord1 * StrideD
_v_add_lshl_u32 v13, v13, v4, 0x2                  // global write D address
s_waitcnt lgkmcnt(3)                               // wait for LDS read
_buffer_store_b128 v[16:19], v13, s[sgprSrdD:sgprSrdD+3], 0, offen, offset:0 // store D
_v_add_u32 v13, v6, 2                              // coord1 += nColPerLoad
v_mul_lo_u32 v13, v13, s[sgprStrideD1J]            // coord1 offset =  coord1 * StrideD
_v_add_lshl_u32 v13, v13, v4, 0x2                  // global write D address
s_waitcnt lgkmcnt(2)                               // wait for LDS read
_buffer_store_b128 v[20:23], v13, s[sgprSrdD:sgprSrdD+3], 0, offen, offset:0 // store D
_v_add_u32 v13, v6, 4                              // coord1 += nColPerLoad
	;; [unrolled: 5-line block ×3, first 2 shown]
v_mul_lo_u32 v13, v13, s[sgprStrideD1J]            // coord1 offset =  coord1 * StrideD
_v_add_lshl_u32 v13, v13, v4, 0x2                  // global write D address
s_waitcnt lgkmcnt(0)                               // wait for LDS read
_buffer_store_b128 v[28:31], v13, s[sgprSrdD:sgprSrdD+3], 0, offen, offset:0 // store D

s_barrier //wait all lds read finished
s_nop 0                                            // 1 wait state required when next inst writes vgprs held by previous dwordx4 store inst
s_branch label_GW_End_43                           // jump to end
GW_B0_E1_35:

/* edge=0, allocate 6 sgpr. perBatchTmpS=4 perBatchMaskS=2 perElementMaskS=0 elementsPerBatch=4 */
/* optSingleColVgpr=0 optSharedColVgpr=0 optSGPRUsage=BufferLoad_Edge_Mask optSrdIncForRow=1 */

/******************************************/
/* Global Write Alpha Edge Batch #0 (d1,d0,vc1,vc0) = */
/*    (0,0,0,0:vw4); (0,1,0,0:vw4); (0,2,0,0:vw4); (0,3,0,0:vw4) */
/******************************************/

/* calc coords, apply mask, and issue loads (if necessary) */
/* (d1,vc1,d0,vc0)=(0,0,0,0) */
_v_add_lshl_u32 v9, v3, v0, 0x2                    // scaleToBpe: accumulate d0 lower and *= bpe into Cin addr
/* (d1,vc1,d0,vc0)=(0,0,1,0) */
_v_add_co_u32 v10, vcc, v0, 8                      // coord0.1: coord0 += d0*sg0*VW + vc0
_v_add_lshl_u32 v16, v3, v10, 0x2                  // scaleToBpe: accumulate d0 lower and *= bpe into Cin addr
/* (d1,vc1,d0,vc0)=(0,0,2,0) */
_v_add_co_u32 v10, vcc, v0, 16                     // coord0.1: coord0 += d0*sg0*VW + vc0
_v_add_lshl_u32 v17, v3, v10, 0x2                  // scaleToBpe: accumulate d0 lower and *= bpe into Cin addr
/* (d1,vc1,d0,vc0)=(0,0,3,0) */
_v_add_co_u32 v10, vcc, v0, 24                     // coord0.1: coord0 += d0*sg0*VW + vc0
_v_add_lshl_u32 v18, v3, v10, 0x2                  // scaleToBpe: accumulate d0 lower and *= bpe into Cin addr
v_accvgpr_read_b32 v[vgprValuC+12], acc0 // copy acc to vreg[0]
v_accvgpr_read_b32 v[vgprValuC+13], acc1 // copy acc to vreg[1]
v_accvgpr_read_b32 v[vgprValuC+14], acc2 // copy acc to vreg[2]
v_accvgpr_read_b32 v[vgprValuC+15], acc3 // copy acc to vreg[3]
v_accvgpr_read_b32 v[vgprValuC+20], acc4 // copy acc to vreg[4]
v_accvgpr_read_b32 v[vgprValuC+21], acc5 // copy acc to vreg[5]
v_accvgpr_read_b32 v[vgprValuC+22], acc6 // copy acc to vreg[6]
v_accvgpr_read_b32 v[vgprValuC+23], acc7 // copy acc to vreg[7]
v_accvgpr_read_b32 v[vgprValuC+24], acc8 // copy acc to vreg[8]
v_accvgpr_read_b32 v[vgprValuC+25], acc9 // copy acc to vreg[9]
v_accvgpr_read_b32 v[vgprValuC+26], acc10 // copy acc to vreg[10]
v_accvgpr_read_b32 v[vgprValuC+27], acc11 // copy acc to vreg[11]
v_accvgpr_read_b32 v[vgprValuC+28], acc12 // copy acc to vreg[12]
v_accvgpr_read_b32 v[vgprValuC+29], acc13 // copy acc to vreg[13]
v_accvgpr_read_b32 v[vgprValuC+30], acc14 // copy acc to vreg[14]
v_accvgpr_read_b32 v[vgprValuC+31], acc15 // copy acc to vreg[15]
s_nop 1                                            // 2 wait states required before reading vgpr

/* rC *= alpha batchElements=[(0, 0, 0, 0), (0, 1, 0, 0), (0, 2, 0, 0), (0, 3, 0, 0)] */
v_mul_lo_u32 v[vgprValuC+12], s[sgprAlpha], v[vgprValuC+12] // *= alpha
v_mul_lo_u32 v[vgprValuC+13], s[sgprAlpha], v[vgprValuC+13] // *= alpha
	;; [unrolled: 1-line block ×16, first 2 shown]

/* apply mask, calc new C and issue writes */
_ds_store_b128 v7, v[12:15], offset:0              // storeRemap lw
_ds_store_b128 v7, v[20:23], offset:32             // storeRemap lw
_ds_store_b128 v7, v[24:27], offset:64             // storeRemap lw
	;; [unrolled: 1-line block ×3, first 2 shown]

/* Handle local read and global write */
s_waitcnt lgkmcnt(0)                               // wait for LDS write
s_barrier //wait all lds write finished

_ds_load_b128 v[12:15], v8, offset:0               // storeRemap lr
_ds_load_b128 v[16:19], v8, offset:1056            // storeRemap lr
_ds_load_b128 v[20:23], v8, offset:2112            // storeRemap lr
	;; [unrolled: 1-line block ×3, first 2 shown]

s_waitcnt lgkmcnt(3)                               // wait for LDS read
_v_add_u32 v11, v5, 0                              // coord1 += nColPerLoad
_v_add_u32 v10, v4, 0                              // coord0 += element index of load vector
_v_add_u32 v9, v6, 0                               // offset coord1 += nColPerLoad
v_cmp_lt_u32 s[52:53], v10, s[sgprSizeI]           // coord0 < size0
v_cmp_lt_u32 s[54:55], v11, s[sgprSizeJ]           // coord1 < size1
s_and_b64 s[54:55], s[52:53], s[54:55]             // in0 && in1
v_mul_lo_u32 v9, v9, s[sgprStrideD1J]              // coord1 element offset =  coord1 * StrideD
_v_add_lshl_u32 v9, v9, v10, 0x2                   // scale to BPE
v_cndmask_b32 v9, -1, v9, s[54:55]                 // clip if OOB. offset
_buffer_store_b128 v[12:15], v9, s[sgprSrdD:sgprSrdD+3], 0, offen, offset:0 // store D
s_waitcnt lgkmcnt(2)                               // wait for LDS read
_v_add_u32 v11, v5, 2                              // coord1 += nColPerLoad
_v_add_u32 v10, v4, 0                              // coord0 += element index of load vector
_v_add_u32 v9, v6, 2                               // offset coord1 += nColPerLoad
v_cmp_lt_u32 s[52:53], v10, s[sgprSizeI]           // coord0 < size0
v_cmp_lt_u32 s[54:55], v11, s[sgprSizeJ]           // coord1 < size1
s_and_b64 s[54:55], s[52:53], s[54:55]             // in0 && in1
v_mul_lo_u32 v9, v9, s[sgprStrideD1J]              // coord1 element offset =  coord1 * StrideD
_v_add_lshl_u32 v9, v9, v10, 0x2                   // scale to BPE
v_cndmask_b32 v9, -1, v9, s[54:55]                 // clip if OOB. offset
_buffer_store_b128 v[16:19], v9, s[sgprSrdD:sgprSrdD+3], 0, offen, offset:0 // store D
	;; [unrolled: 11-line block ×4, first 2 shown]

s_barrier //wait all lds read finished
s_nop 0                                            // 1 wait state required when next inst writes vgprs held by previous dwordx4 store inst
/* optSingleColVgpr=0 optSharedColVgpr=0 optSGPRUsage=BufferLoad_Edge_Mask optSrdIncForRow=1 */

/******************************************/
/* Global Write Alpha Edge Batch #1 (d1,d0,vc1,vc0) = */
/*    (1,0,0,0:vw4); (1,1,0,0:vw4); (1,2,0,0:vw4); (1,3,0,0:vw4) */
/******************************************/

/* calc coords, apply mask, and issue loads (if necessary) */
/* (d1,vc1,d0,vc0)=(1,0,0,0) */
_v_add_co_u32 v1, vcc, v1, 32                      // coord1.1: coord1Vgpr += d1*sg1*VW + vc1
_v_add_lshl_u32 v9, v3, v0, 0x2                    // scaleToBpe: accumulate d0 lower and *= bpe into Cin addr
/* (d1,vc1,d0,vc0)=(1,0,1,0) */
_v_add_co_u32 v10, vcc, v0, 8                      // coord0.1: coord0 += d0*sg0*VW + vc0
_v_add_lshl_u32 v16, v3, v10, 0x2                  // scaleToBpe: accumulate d0 lower and *= bpe into Cin addr
/* (d1,vc1,d0,vc0)=(1,0,2,0) */
_v_add_co_u32 v10, vcc, v0, 16                     // coord0.1: coord0 += d0*sg0*VW + vc0
_v_add_lshl_u32 v17, v3, v10, 0x2                  // scaleToBpe: accumulate d0 lower and *= bpe into Cin addr
/* (d1,vc1,d0,vc0)=(1,0,3,0) */
_v_add_co_u32 v10, vcc, v0, 24                     // coord0.1: coord0 += d0*sg0*VW + vc0
_v_add_lshl_u32 v18, v3, v10, 0x2                  // scaleToBpe: accumulate d0 lower and *= bpe into Cin addr
v_accvgpr_read_b32 v[vgprValuC+12], acc16 // copy acc to vreg[16]
v_accvgpr_read_b32 v[vgprValuC+13], acc17 // copy acc to vreg[17]
v_accvgpr_read_b32 v[vgprValuC+14], acc18 // copy acc to vreg[18]
v_accvgpr_read_b32 v[vgprValuC+15], acc19 // copy acc to vreg[19]
v_accvgpr_read_b32 v[vgprValuC+20], acc20 // copy acc to vreg[20]
v_accvgpr_read_b32 v[vgprValuC+21], acc21 // copy acc to vreg[21]
v_accvgpr_read_b32 v[vgprValuC+22], acc22 // copy acc to vreg[22]
v_accvgpr_read_b32 v[vgprValuC+23], acc23 // copy acc to vreg[23]
v_accvgpr_read_b32 v[vgprValuC+24], acc24 // copy acc to vreg[24]
v_accvgpr_read_b32 v[vgprValuC+25], acc25 // copy acc to vreg[25]
v_accvgpr_read_b32 v[vgprValuC+26], acc26 // copy acc to vreg[26]
v_accvgpr_read_b32 v[vgprValuC+27], acc27 // copy acc to vreg[27]
v_accvgpr_read_b32 v[vgprValuC+28], acc28 // copy acc to vreg[28]
v_accvgpr_read_b32 v[vgprValuC+29], acc29 // copy acc to vreg[29]
v_accvgpr_read_b32 v[vgprValuC+30], acc30 // copy acc to vreg[30]
v_accvgpr_read_b32 v[vgprValuC+31], acc31 // copy acc to vreg[31]
s_nop 1                                            // 2 wait states required before reading vgpr

/* rC *= alpha batchElements=[(1, 0, 0, 0), (1, 1, 0, 0), (1, 2, 0, 0), (1, 3, 0, 0)] */
v_mul_lo_u32 v[vgprValuC+12], s[sgprAlpha], v[vgprValuC+12] // *= alpha
v_mul_lo_u32 v[vgprValuC+13], s[sgprAlpha], v[vgprValuC+13] // *= alpha
	;; [unrolled: 1-line block ×16, first 2 shown]

/* apply mask, calc new C and issue writes */

/* StoreRemap: shift coord1 address */
s_mul_i32 s52, s[sgprStrideD1J], 128               // scale StrideD *= numRows(32) * bpe
s_add_u32  s[sgprSrdD+0], s[sgprSrdD+0], s52       // incToNextRow: gra SRD += inc(lower)
s_addc_u32  s[sgprSrdD+1], s[sgprSrdD+1], 0        // incToNextRow: gra SRD += inc(upper)
v_mov_b32 v10, 32                                  // set shift rows
_v_add_u32 v5, v5, v10                             // shift storeRemap coord1
_ds_store_b128 v7, v[12:15], offset:0              // storeRemap lw
_ds_store_b128 v7, v[20:23], offset:32             // storeRemap lw
_ds_store_b128 v7, v[24:27], offset:64             // storeRemap lw
	;; [unrolled: 1-line block ×3, first 2 shown]

/* Handle local read and global write */
s_waitcnt lgkmcnt(0)                               // wait for LDS write
s_barrier //wait all lds write finished

_ds_load_b128 v[12:15], v8, offset:0               // storeRemap lr
_ds_load_b128 v[16:19], v8, offset:1056            // storeRemap lr
_ds_load_b128 v[20:23], v8, offset:2112            // storeRemap lr
	;; [unrolled: 1-line block ×3, first 2 shown]

s_waitcnt lgkmcnt(3)                               // wait for LDS read
_v_add_u32 v11, v5, 0                              // coord1 += nColPerLoad
_v_add_u32 v10, v4, 0                              // coord0 += element index of load vector
_v_add_u32 v9, v6, 0                               // offset coord1 += nColPerLoad
v_cmp_lt_u32 s[52:53], v10, s[sgprSizeI]           // coord0 < size0
v_cmp_lt_u32 s[54:55], v11, s[sgprSizeJ]           // coord1 < size1
s_and_b64 s[54:55], s[52:53], s[54:55]             // in0 && in1
v_mul_lo_u32 v9, v9, s[sgprStrideD1J]              // coord1 element offset =  coord1 * StrideD
_v_add_lshl_u32 v9, v9, v10, 0x2                   // scale to BPE
v_cndmask_b32 v9, -1, v9, s[54:55]                 // clip if OOB. offset
_buffer_store_b128 v[12:15], v9, s[sgprSrdD:sgprSrdD+3], 0, offen, offset:0 // store D
s_waitcnt lgkmcnt(2)                               // wait for LDS read
_v_add_u32 v11, v5, 2                              // coord1 += nColPerLoad
_v_add_u32 v10, v4, 0                              // coord0 += element index of load vector
_v_add_u32 v9, v6, 2                               // offset coord1 += nColPerLoad
v_cmp_lt_u32 s[52:53], v10, s[sgprSizeI]           // coord0 < size0
v_cmp_lt_u32 s[54:55], v11, s[sgprSizeJ]           // coord1 < size1
s_and_b64 s[54:55], s[52:53], s[54:55]             // in0 && in1
v_mul_lo_u32 v9, v9, s[sgprStrideD1J]              // coord1 element offset =  coord1 * StrideD
_v_add_lshl_u32 v9, v9, v10, 0x2                   // scale to BPE
v_cndmask_b32 v9, -1, v9, s[54:55]                 // clip if OOB. offset
_buffer_store_b128 v[16:19], v9, s[sgprSrdD:sgprSrdD+3], 0, offen, offset:0 // store D
s_waitcnt lgkmcnt(1)                               // wait for LDS read
_v_add_u32 v11, v5, 4                              // coord1 += nColPerLoad
_v_add_u32 v10, v4, 0                              // coord0 += element index of load vector
_v_add_u32 v9, v6, 4                               // offset coord1 += nColPerLoad
v_cmp_lt_u32 s[52:53], v10, s[sgprSizeI]           // coord0 < size0
v_cmp_lt_u32 s[54:55], v11, s[sgprSizeJ]           // coord1 < size1
s_and_b64 s[54:55], s[52:53], s[54:55]             // in0 && in1
v_mul_lo_u32 v9, v9, s[sgprStrideD1J]              // coord1 element offset =  coord1 * StrideD
_v_add_lshl_u32 v9, v9, v10, 0x2                   // scale to BPE
v_cndmask_b32 v9, -1, v9, s[54:55]                 // clip if OOB. offset
_buffer_store_b128 v[20:23], v9, s[sgprSrdD:sgprSrdD+3], 0, offen, offset:0 // store D
s_waitcnt lgkmcnt(0)                               // wait for LDS read
_v_add_u32 v11, v5, 6                              // coord1 += nColPerLoad
_v_add_u32 v10, v4, 0                              // coord0 += element index of load vector
_v_add_u32 v9, v6, 6                               // offset coord1 += nColPerLoad
v_cmp_lt_u32 s[52:53], v10, s[sgprSizeI]           // coord0 < size0
v_cmp_lt_u32 s[54:55], v11, s[sgprSizeJ]           // coord1 < size1
s_and_b64 s[54:55], s[52:53], s[54:55]             // in0 && in1
v_mul_lo_u32 v9, v9, s[sgprStrideD1J]              // coord1 element offset =  coord1 * StrideD
_v_add_lshl_u32 v9, v9, v10, 0x2                   // scale to BPE
v_cndmask_b32 v9, -1, v9, s[54:55]                 // clip if OOB. offset
_buffer_store_b128 v[24:27], v9, s[sgprSrdD:sgprSrdD+3], 0, offen, offset:0 // store D

s_barrier //wait all lds read finished
s_nop 0                                            // 1 wait state required when next inst writes vgprs held by previous dwordx4 store inst
/* optSingleColVgpr=0 optSharedColVgpr=0 optSGPRUsage=BufferLoad_Edge_Mask optSrdIncForRow=1 */

/******************************************/
/* Global Write Alpha Edge Batch #2 (d1,d0,vc1,vc0) = */
/*    (2,0,0,0:vw4); (2,1,0,0:vw4); (2,2,0,0:vw4); (2,3,0,0:vw4) */
/******************************************/

/* calc coords, apply mask, and issue loads (if necessary) */
/* (d1,vc1,d0,vc0)=(2,0,0,0) */
_v_add_co_u32 v1, vcc, v1, 32                      // coord1.1: coord1Vgpr += d1*sg1*VW + vc1
_v_add_lshl_u32 v9, v3, v0, 0x2                    // scaleToBpe: accumulate d0 lower and *= bpe into Cin addr
/* (d1,vc1,d0,vc0)=(2,0,1,0) */
_v_add_co_u32 v10, vcc, v0, 8                      // coord0.1: coord0 += d0*sg0*VW + vc0
_v_add_lshl_u32 v16, v3, v10, 0x2                  // scaleToBpe: accumulate d0 lower and *= bpe into Cin addr
/* (d1,vc1,d0,vc0)=(2,0,2,0) */
_v_add_co_u32 v10, vcc, v0, 16                     // coord0.1: coord0 += d0*sg0*VW + vc0
_v_add_lshl_u32 v17, v3, v10, 0x2                  // scaleToBpe: accumulate d0 lower and *= bpe into Cin addr
/* (d1,vc1,d0,vc0)=(2,0,3,0) */
_v_add_co_u32 v10, vcc, v0, 24                     // coord0.1: coord0 += d0*sg0*VW + vc0
_v_add_lshl_u32 v18, v3, v10, 0x2                  // scaleToBpe: accumulate d0 lower and *= bpe into Cin addr
v_accvgpr_read_b32 v[vgprValuC+12], acc32 // copy acc to vreg[32]
v_accvgpr_read_b32 v[vgprValuC+13], acc33 // copy acc to vreg[33]
v_accvgpr_read_b32 v[vgprValuC+14], acc34 // copy acc to vreg[34]
v_accvgpr_read_b32 v[vgprValuC+15], acc35 // copy acc to vreg[35]
v_accvgpr_read_b32 v[vgprValuC+20], acc36 // copy acc to vreg[36]
v_accvgpr_read_b32 v[vgprValuC+21], acc37 // copy acc to vreg[37]
v_accvgpr_read_b32 v[vgprValuC+22], acc38 // copy acc to vreg[38]
v_accvgpr_read_b32 v[vgprValuC+23], acc39 // copy acc to vreg[39]
v_accvgpr_read_b32 v[vgprValuC+24], acc40 // copy acc to vreg[40]
v_accvgpr_read_b32 v[vgprValuC+25], acc41 // copy acc to vreg[41]
v_accvgpr_read_b32 v[vgprValuC+26], acc42 // copy acc to vreg[42]
v_accvgpr_read_b32 v[vgprValuC+27], acc43 // copy acc to vreg[43]
v_accvgpr_read_b32 v[vgprValuC+28], acc44 // copy acc to vreg[44]
v_accvgpr_read_b32 v[vgprValuC+29], acc45 // copy acc to vreg[45]
v_accvgpr_read_b32 v[vgprValuC+30], acc46 // copy acc to vreg[46]
v_accvgpr_read_b32 v[vgprValuC+31], acc47 // copy acc to vreg[47]
s_nop 1                                            // 2 wait states required before reading vgpr

/* rC *= alpha batchElements=[(2, 0, 0, 0), (2, 1, 0, 0), (2, 2, 0, 0), (2, 3, 0, 0)] */
v_mul_lo_u32 v[vgprValuC+12], s[sgprAlpha], v[vgprValuC+12] // *= alpha
v_mul_lo_u32 v[vgprValuC+13], s[sgprAlpha], v[vgprValuC+13] // *= alpha
v_mul_lo_u32 v[vgprValuC+14], s[sgprAlpha], v[vgprValuC+14] // *= alpha
v_mul_lo_u32 v[vgprValuC+15], s[sgprAlpha], v[vgprValuC+15] // *= alpha
v_mul_lo_u32 v[vgprValuC+20], s[sgprAlpha], v[vgprValuC+20] // *= alpha
v_mul_lo_u32 v[vgprValuC+21], s[sgprAlpha], v[vgprValuC+21] // *= alpha
v_mul_lo_u32 v[vgprValuC+22], s[sgprAlpha], v[vgprValuC+22] // *= alpha
v_mul_lo_u32 v[vgprValuC+23], s[sgprAlpha], v[vgprValuC+23] // *= alpha
v_mul_lo_u32 v[vgprValuC+24], s[sgprAlpha], v[vgprValuC+24] // *= alpha
v_mul_lo_u32 v[vgprValuC+25], s[sgprAlpha], v[vgprValuC+25] // *= alpha
v_mul_lo_u32 v[vgprValuC+26], s[sgprAlpha], v[vgprValuC+26] // *= alpha
v_mul_lo_u32 v[vgprValuC+27], s[sgprAlpha], v[vgprValuC+27] // *= alpha
v_mul_lo_u32 v[vgprValuC+28], s[sgprAlpha], v[vgprValuC+28] // *= alpha
v_mul_lo_u32 v[vgprValuC+29], s[sgprAlpha], v[vgprValuC+29] // *= alpha
v_mul_lo_u32 v[vgprValuC+30], s[sgprAlpha], v[vgprValuC+30] // *= alpha
v_mul_lo_u32 v[vgprValuC+31], s[sgprAlpha], v[vgprValuC+31] // *= alpha

/* apply mask, calc new C and issue writes */

/* StoreRemap: shift coord1 address */
s_mul_i32 s52, s[sgprStrideD1J], 128               // scale StrideD *= numRows(32) * bpe
s_add_u32  s[sgprSrdD+0], s[sgprSrdD+0], s52       // incToNextRow: gra SRD += inc(lower)
s_addc_u32  s[sgprSrdD+1], s[sgprSrdD+1], 0        // incToNextRow: gra SRD += inc(upper)
v_mov_b32 v10, 32                                  // set shift rows
_v_add_u32 v5, v5, v10                             // shift storeRemap coord1
_ds_store_b128 v7, v[12:15], offset:0              // storeRemap lw
_ds_store_b128 v7, v[20:23], offset:32             // storeRemap lw
_ds_store_b128 v7, v[24:27], offset:64             // storeRemap lw
	;; [unrolled: 1-line block ×3, first 2 shown]

/* Handle local read and global write */
s_waitcnt lgkmcnt(0)                               // wait for LDS write
s_barrier //wait all lds write finished

_ds_load_b128 v[12:15], v8, offset:0               // storeRemap lr
_ds_load_b128 v[16:19], v8, offset:1056            // storeRemap lr
_ds_load_b128 v[20:23], v8, offset:2112            // storeRemap lr
	;; [unrolled: 1-line block ×3, first 2 shown]

s_waitcnt lgkmcnt(3)                               // wait for LDS read
_v_add_u32 v11, v5, 0                              // coord1 += nColPerLoad
_v_add_u32 v10, v4, 0                              // coord0 += element index of load vector
_v_add_u32 v9, v6, 0                               // offset coord1 += nColPerLoad
v_cmp_lt_u32 s[52:53], v10, s[sgprSizeI]           // coord0 < size0
v_cmp_lt_u32 s[54:55], v11, s[sgprSizeJ]           // coord1 < size1
s_and_b64 s[54:55], s[52:53], s[54:55]             // in0 && in1
v_mul_lo_u32 v9, v9, s[sgprStrideD1J]              // coord1 element offset =  coord1 * StrideD
_v_add_lshl_u32 v9, v9, v10, 0x2                   // scale to BPE
v_cndmask_b32 v9, -1, v9, s[54:55]                 // clip if OOB. offset
_buffer_store_b128 v[12:15], v9, s[sgprSrdD:sgprSrdD+3], 0, offen, offset:0 // store D
s_waitcnt lgkmcnt(2)                               // wait for LDS read
_v_add_u32 v11, v5, 2                              // coord1 += nColPerLoad
_v_add_u32 v10, v4, 0                              // coord0 += element index of load vector
_v_add_u32 v9, v6, 2                               // offset coord1 += nColPerLoad
v_cmp_lt_u32 s[52:53], v10, s[sgprSizeI]           // coord0 < size0
v_cmp_lt_u32 s[54:55], v11, s[sgprSizeJ]           // coord1 < size1
s_and_b64 s[54:55], s[52:53], s[54:55]             // in0 && in1
v_mul_lo_u32 v9, v9, s[sgprStrideD1J]              // coord1 element offset =  coord1 * StrideD
_v_add_lshl_u32 v9, v9, v10, 0x2                   // scale to BPE
v_cndmask_b32 v9, -1, v9, s[54:55]                 // clip if OOB. offset
_buffer_store_b128 v[16:19], v9, s[sgprSrdD:sgprSrdD+3], 0, offen, offset:0 // store D
s_waitcnt lgkmcnt(1)                               // wait for LDS read
_v_add_u32 v11, v5, 4                              // coord1 += nColPerLoad
_v_add_u32 v10, v4, 0                              // coord0 += element index of load vector
_v_add_u32 v9, v6, 4                               // offset coord1 += nColPerLoad
v_cmp_lt_u32 s[52:53], v10, s[sgprSizeI]           // coord0 < size0
v_cmp_lt_u32 s[54:55], v11, s[sgprSizeJ]           // coord1 < size1
s_and_b64 s[54:55], s[52:53], s[54:55]             // in0 && in1
v_mul_lo_u32 v9, v9, s[sgprStrideD1J]              // coord1 element offset =  coord1 * StrideD
_v_add_lshl_u32 v9, v9, v10, 0x2                   // scale to BPE
v_cndmask_b32 v9, -1, v9, s[54:55]                 // clip if OOB. offset
_buffer_store_b128 v[20:23], v9, s[sgprSrdD:sgprSrdD+3], 0, offen, offset:0 // store D
s_waitcnt lgkmcnt(0)                               // wait for LDS read
_v_add_u32 v11, v5, 6                              // coord1 += nColPerLoad
_v_add_u32 v10, v4, 0                              // coord0 += element index of load vector
_v_add_u32 v9, v6, 6                               // offset coord1 += nColPerLoad
v_cmp_lt_u32 s[52:53], v10, s[sgprSizeI]           // coord0 < size0
v_cmp_lt_u32 s[54:55], v11, s[sgprSizeJ]           // coord1 < size1
s_and_b64 s[54:55], s[52:53], s[54:55]             // in0 && in1
v_mul_lo_u32 v9, v9, s[sgprStrideD1J]              // coord1 element offset =  coord1 * StrideD
_v_add_lshl_u32 v9, v9, v10, 0x2                   // scale to BPE
v_cndmask_b32 v9, -1, v9, s[54:55]                 // clip if OOB. offset
_buffer_store_b128 v[24:27], v9, s[sgprSrdD:sgprSrdD+3], 0, offen, offset:0 // store D

s_barrier //wait all lds read finished
s_nop 0                                            // 1 wait state required when next inst writes vgprs held by previous dwordx4 store inst
s_branch label_GW_End_43                           // jump to end
GW_Beta_44:
s_and_b32 s52, 127, s[sgprSizeI]                   // s52 = s[sgprSizeI] % 128
s_add_u32 s53, -0x1, s[sgprNumWorkGroups0]         // 
s_cmp_ge_u32 s[sgprWorkGroup0], s53                // wg0 >= nwg0-1 ?
s_cselect_b32 s52, s52, 0                          // set rMT0
s_cmpk_gt_u32 s52, 0x0                             // rMT0 > 0
s_cbranch_scc1 GW_B1_E1_42                         // jump if edges required
s_mov_b32 s55, 0x0                                 // STATIC_DIV: divisior=96
s_mul_i32 s54, 0x555, s[sgprSizeJ]                 // tmp1 = dividend * magic hi
s_lshl_b64 s[54:55], s[54:55], 0x10                // left shift 16 bits
s_mul_i32 s53, s[sgprSizeJ], 0x5556                // tmp0 = dividend * magic lo
s_add_u32 s54, s53, s54                            // add lo
s_addc_u32 s55, s55, 0x0                           // add hi
s_lshr_b64 s[54:55], s[54:55], 0x21                // tmp1 = (dividend * magic) << shift
s_mov_b32 s53, s54                                 // quotient
s_mul_i32 s54, s53, 0x60                           // quotient*divisor
s_sub_u32 s52, s[sgprSizeJ], s54                   // rReg = dividend - quotient*divisor
s_add_u32 s53, -0x1, s[sgprNumWorkGroups1]         // 
s_cmp_ge_u32 s[sgprWorkGroup1], s53                // wg1 >= nwg1-1
s_cselect_b32 s52, s52, 0                          // set rMT1
s_cmpk_gt_u32 s52, 0x0                             // rMT1 > 0
s_cbranch_scc1 GW_B1_E1_42                         // jump if edges required
GW_B1_E0_39:

/* edge=0, allocate 2 sgpr. perBatchTmpS=2 perBatchMaskS=0 perElementMaskS=0 elementsPerBatch=4 */
/* optSingleColVgpr=1 optSharedColVgpr=0 optSGPRUsage=BufferLoad_Mask optSrdIncForRow=1 */

/******************************************/
/* Global Write Alpha Beta Batch #0 (d1,d0,vc1,vc0) = */
/*    (0,0,0,0:vw4); (0,1,0,0:vw4); (0,2,0,0:vw4); (0,3,0,0:vw4) */
/******************************************/

/* calc coords, apply mask, and issue loads (if necessary) */
/* (d1,vc1,d0,vc0)=(0,0,0,0) */
_v_add_lshl_u32 v12, v2, v0, 0x2                   // optSingleColVgpr scaleToBpe: sharedAddrVgpr <- cinRowPtr + coord0, scaled by BPE. BSHERE:coord0=0, coord0Vgpr=0
_buffer_load_b128 v[16:19], v12, s[sgprSrdC:sgprSrdC+3], 0, offen offset:0 // load C for beta calc
/* (d1,vc1,d0,vc0)=(0,0,1,0) */
_buffer_load_b128 v[24:27], v12, s[sgprSrdC:sgprSrdC+3], 0, offen offset:32 // load C for beta calc
/* (d1,vc1,d0,vc0)=(0,0,2,0) */
	;; [unrolled: 2-line block ×3, first 2 shown]
_buffer_load_b128 v[40:43], v12, s[sgprSrdC:sgprSrdC+3], 0, offen offset:96 // load C for beta calc
_v_add_lshl_u32 v9, v3, v0, 0x2                    // optSingleColVgpr scaleToBpe: sharedAddrVgpr <- cinRowPtr + coord0, scaled by BPE. BSHERE:coord0=0, coord0Vgpr=0
v_accvgpr_read_b32 v[vgprValuC+20], acc0 // copy acc to vreg[0]
v_accvgpr_read_b32 v[vgprValuC+21], acc1 // copy acc to vreg[1]
v_accvgpr_read_b32 v[vgprValuC+22], acc2 // copy acc to vreg[2]
v_accvgpr_read_b32 v[vgprValuC+23], acc3 // copy acc to vreg[3]
v_accvgpr_read_b32 v[vgprValuC+28], acc4 // copy acc to vreg[4]
v_accvgpr_read_b32 v[vgprValuC+29], acc5 // copy acc to vreg[5]
v_accvgpr_read_b32 v[vgprValuC+30], acc6 // copy acc to vreg[6]
v_accvgpr_read_b32 v[vgprValuC+31], acc7 // copy acc to vreg[7]
v_accvgpr_read_b32 v[vgprValuC+36], acc8 // copy acc to vreg[8]
v_accvgpr_read_b32 v[vgprValuC+37], acc9 // copy acc to vreg[9]
v_accvgpr_read_b32 v[vgprValuC+38], acc10 // copy acc to vreg[10]
v_accvgpr_read_b32 v[vgprValuC+39], acc11 // copy acc to vreg[11]
v_accvgpr_read_b32 v[vgprValuC+44], acc12 // copy acc to vreg[12]
v_accvgpr_read_b32 v[vgprValuC+45], acc13 // copy acc to vreg[13]
v_accvgpr_read_b32 v[vgprValuC+46], acc14 // copy acc to vreg[14]
v_accvgpr_read_b32 v[vgprValuC+47], acc15 // copy acc to vreg[15]
s_nop 1                                            // 2 wait states required before reading vgpr

/* rC *= alpha batchElements=[(0, 0, 0, 0), (0, 1, 0, 0), (0, 2, 0, 0), (0, 3, 0, 0)] */
v_mul_lo_u32 v[vgprValuC+20], s[sgprAlpha], v[vgprValuC+20] // *= alpha
v_mul_lo_u32 v[vgprValuC+21], s[sgprAlpha], v[vgprValuC+21] // *= alpha
	;; [unrolled: 1-line block ×16, first 2 shown]

/* apply mask, calc new C and issue writes */

s_waitcnt vmcnt(3)                                 // wait C (interleaved) 3 = 4 - 0 + 0 - 1
v_mul_lo_u32 v16, s[sgprBeta], v16                 // C = C*beta
_v_add_u32 v[vgprValuC+20], v16, v[vgprValuC+20]   // finalSum = sum*alpha + C*beta
v_mul_lo_u32 v17, s[sgprBeta], v17                 // C = C*beta
_v_add_u32 v[vgprValuC+21], v17, v[vgprValuC+21]   // finalSum = sum*alpha + C*beta
	;; [unrolled: 2-line block ×4, first 2 shown]
_ds_store_b128 v7, v[20:23], offset:0              // storeRemap lw

s_waitcnt vmcnt(2)                                 // wait C (interleaved) 2 = 4 - 1 + 0 - 1
v_mul_lo_u32 v24, s[sgprBeta], v24                 // C = C*beta
_v_add_u32 v[vgprValuC+28], v24, v[vgprValuC+28]   // finalSum = sum*alpha + C*beta
v_mul_lo_u32 v25, s[sgprBeta], v25                 // C = C*beta
_v_add_u32 v[vgprValuC+29], v25, v[vgprValuC+29]   // finalSum = sum*alpha + C*beta
v_mul_lo_u32 v26, s[sgprBeta], v26                 // C = C*beta
_v_add_u32 v[vgprValuC+30], v26, v[vgprValuC+30]   // finalSum = sum*alpha + C*beta
v_mul_lo_u32 v27, s[sgprBeta], v27                 // C = C*beta
_v_add_u32 v[vgprValuC+31], v27, v[vgprValuC+31]   // finalSum = sum*alpha + C*beta
_ds_store_b128 v7, v[28:31], offset:32             // storeRemap lw

s_waitcnt vmcnt(1)                                 // wait C (interleaved) 1 = 4 - 2 + 0 - 1
v_mul_lo_u32 v32, s[sgprBeta], v32                 // C = C*beta
_v_add_u32 v[vgprValuC+36], v32, v[vgprValuC+36]   // finalSum = sum*alpha + C*beta
v_mul_lo_u32 v33, s[sgprBeta], v33                 // C = C*beta
_v_add_u32 v[vgprValuC+37], v33, v[vgprValuC+37]   // finalSum = sum*alpha + C*beta
v_mul_lo_u32 v34, s[sgprBeta], v34                 // C = C*beta
_v_add_u32 v[vgprValuC+38], v34, v[vgprValuC+38]   // finalSum = sum*alpha + C*beta
v_mul_lo_u32 v35, s[sgprBeta], v35                 // C = C*beta
_v_add_u32 v[vgprValuC+39], v35, v[vgprValuC+39]   // finalSum = sum*alpha + C*beta
_ds_store_b128 v7, v[36:39], offset:64             // storeRemap lw
	;; [unrolled: 11-line block ×3, first 2 shown]

/* Handle local read and global write */
s_waitcnt lgkmcnt(0)                               // wait for LDS write
s_barrier //wait all lds write finished

_ds_load_b128 v[16:19], v8, offset:0               // storeRemap lr
_ds_load_b128 v[20:23], v8, offset:1056            // storeRemap lr
_ds_load_b128 v[24:27], v8, offset:2112            // storeRemap lr
	;; [unrolled: 1-line block ×3, first 2 shown]

v_mov_b32 v13, v6                                  // coord1
v_mul_lo_u32 v13, v13, s[sgprStrideD1J]            // coord1 offset =  coord1 * StrideD
_v_add_lshl_u32 v13, v13, v4, 0x2                  // global write D address
s_waitcnt lgkmcnt(3)                               // wait for LDS read
_buffer_store_b128 v[16:19], v13, s[sgprSrdD:sgprSrdD+3], 0, offen, offset:0 // store D
_v_add_u32 v13, v6, 2                              // coord1 += nColPerLoad
v_mul_lo_u32 v13, v13, s[sgprStrideD1J]            // coord1 offset =  coord1 * StrideD
_v_add_lshl_u32 v13, v13, v4, 0x2                  // global write D address
s_waitcnt lgkmcnt(2)                               // wait for LDS read
_buffer_store_b128 v[20:23], v13, s[sgprSrdD:sgprSrdD+3], 0, offen, offset:0 // store D
_v_add_u32 v13, v6, 4                              // coord1 += nColPerLoad
	;; [unrolled: 5-line block ×3, first 2 shown]
v_mul_lo_u32 v13, v13, s[sgprStrideD1J]            // coord1 offset =  coord1 * StrideD
_v_add_lshl_u32 v13, v13, v4, 0x2                  // global write D address
s_waitcnt lgkmcnt(0)                               // wait for LDS read
_buffer_store_b128 v[28:31], v13, s[sgprSrdD:sgprSrdD+3], 0, offen, offset:0 // store D

s_barrier //wait all lds read finished
s_nop 0                                            // 1 wait state required when next inst writes vgprs held by previous dwordx4 store inst
/* optSingleColVgpr=1 optSharedColVgpr=0 optSGPRUsage=BufferLoad_Mask optSrdIncForRow=1 */

/******************************************/
/* Global Write Alpha Beta Batch #1 (d1,d0,vc1,vc0) = */
/*    (1,0,0,0:vw4); (1,1,0,0:vw4); (1,2,0,0:vw4); (1,3,0,0:vw4) */
/******************************************/

/* calc coords, apply mask, and issue loads (if necessary) */
/* (d1,vc1,d0,vc0)=(1,0,0,0) */
s_mul_i32 s52, s[sgprStrideC1J], 128               // scale StrideC *= numRows(32) * bpe
s_add_u32  s[sgprSrdC+0], s[sgprSrdC+0], s52       // incToNextRow: gra SRD += inc(lower)
s_addc_u32  s[sgprSrdC+1], s[sgprSrdC+1], 0        // incToNextRow: gra SRD += inc(upper)
_buffer_load_b128 v[16:19], v12, s[sgprSrdC:sgprSrdC+3], 0, offen offset:0 // load C for beta calc
/* (d1,vc1,d0,vc0)=(1,0,1,0) */
_buffer_load_b128 v[24:27], v12, s[sgprSrdC:sgprSrdC+3], 0, offen offset:32 // load C for beta calc
/* (d1,vc1,d0,vc0)=(1,0,2,0) */
_buffer_load_b128 v[32:35], v12, s[sgprSrdC:sgprSrdC+3], 0, offen offset:64 // load C for beta calc
/* (d1,vc1,d0,vc0)=(1,0,3,0) */
_buffer_load_b128 v[40:43], v12, s[sgprSrdC:sgprSrdC+3], 0, offen offset:96 // load C for beta calc
v_accvgpr_read_b32 v[vgprValuC+20], acc16 // copy acc to vreg[16]
v_accvgpr_read_b32 v[vgprValuC+21], acc17 // copy acc to vreg[17]
v_accvgpr_read_b32 v[vgprValuC+22], acc18 // copy acc to vreg[18]
v_accvgpr_read_b32 v[vgprValuC+23], acc19 // copy acc to vreg[19]
v_accvgpr_read_b32 v[vgprValuC+28], acc20 // copy acc to vreg[20]
v_accvgpr_read_b32 v[vgprValuC+29], acc21 // copy acc to vreg[21]
v_accvgpr_read_b32 v[vgprValuC+30], acc22 // copy acc to vreg[22]
v_accvgpr_read_b32 v[vgprValuC+31], acc23 // copy acc to vreg[23]
v_accvgpr_read_b32 v[vgprValuC+36], acc24 // copy acc to vreg[24]
v_accvgpr_read_b32 v[vgprValuC+37], acc25 // copy acc to vreg[25]
v_accvgpr_read_b32 v[vgprValuC+38], acc26 // copy acc to vreg[26]
v_accvgpr_read_b32 v[vgprValuC+39], acc27 // copy acc to vreg[27]
v_accvgpr_read_b32 v[vgprValuC+44], acc28 // copy acc to vreg[28]
v_accvgpr_read_b32 v[vgprValuC+45], acc29 // copy acc to vreg[29]
v_accvgpr_read_b32 v[vgprValuC+46], acc30 // copy acc to vreg[30]
v_accvgpr_read_b32 v[vgprValuC+47], acc31 // copy acc to vreg[31]
s_nop 1                                            // 2 wait states required before reading vgpr

/* rC *= alpha batchElements=[(1, 0, 0, 0), (1, 1, 0, 0), (1, 2, 0, 0), (1, 3, 0, 0)] */
v_mul_lo_u32 v[vgprValuC+20], s[sgprAlpha], v[vgprValuC+20] // *= alpha
v_mul_lo_u32 v[vgprValuC+21], s[sgprAlpha], v[vgprValuC+21] // *= alpha
	;; [unrolled: 1-line block ×16, first 2 shown]

/* apply mask, calc new C and issue writes */

/* StoreRemap: shift coord1 address */
s_mul_i32 s52, s[sgprStrideD1J], 128               // scale StrideD *= numRows(32) * bpe
s_add_u32  s[sgprSrdD+0], s[sgprSrdD+0], s52       // incToNextRow: gra SRD += inc(lower)
s_addc_u32  s[sgprSrdD+1], s[sgprSrdD+1], 0        // incToNextRow: gra SRD += inc(upper)
v_mov_b32 v10, 32                                  // set shift rows
_v_add_u32 v5, v5, v10                             // shift storeRemap coord1

s_waitcnt vmcnt(3)                                 // wait C (interleaved) 3 = 4 - 0 + 0 - 1
v_mul_lo_u32 v16, s[sgprBeta], v16                 // C = C*beta
_v_add_u32 v[vgprValuC+20], v16, v[vgprValuC+20]   // finalSum = sum*alpha + C*beta
v_mul_lo_u32 v17, s[sgprBeta], v17                 // C = C*beta
_v_add_u32 v[vgprValuC+21], v17, v[vgprValuC+21]   // finalSum = sum*alpha + C*beta
	;; [unrolled: 2-line block ×4, first 2 shown]
_ds_store_b128 v7, v[20:23], offset:0              // storeRemap lw

s_waitcnt vmcnt(2)                                 // wait C (interleaved) 2 = 4 - 1 + 0 - 1
v_mul_lo_u32 v24, s[sgprBeta], v24                 // C = C*beta
_v_add_u32 v[vgprValuC+28], v24, v[vgprValuC+28]   // finalSum = sum*alpha + C*beta
v_mul_lo_u32 v25, s[sgprBeta], v25                 // C = C*beta
_v_add_u32 v[vgprValuC+29], v25, v[vgprValuC+29]   // finalSum = sum*alpha + C*beta
v_mul_lo_u32 v26, s[sgprBeta], v26                 // C = C*beta
_v_add_u32 v[vgprValuC+30], v26, v[vgprValuC+30]   // finalSum = sum*alpha + C*beta
v_mul_lo_u32 v27, s[sgprBeta], v27                 // C = C*beta
_v_add_u32 v[vgprValuC+31], v27, v[vgprValuC+31]   // finalSum = sum*alpha + C*beta
_ds_store_b128 v7, v[28:31], offset:32             // storeRemap lw

s_waitcnt vmcnt(1)                                 // wait C (interleaved) 1 = 4 - 2 + 0 - 1
v_mul_lo_u32 v32, s[sgprBeta], v32                 // C = C*beta
_v_add_u32 v[vgprValuC+36], v32, v[vgprValuC+36]   // finalSum = sum*alpha + C*beta
v_mul_lo_u32 v33, s[sgprBeta], v33                 // C = C*beta
_v_add_u32 v[vgprValuC+37], v33, v[vgprValuC+37]   // finalSum = sum*alpha + C*beta
v_mul_lo_u32 v34, s[sgprBeta], v34                 // C = C*beta
_v_add_u32 v[vgprValuC+38], v34, v[vgprValuC+38]   // finalSum = sum*alpha + C*beta
v_mul_lo_u32 v35, s[sgprBeta], v35                 // C = C*beta
_v_add_u32 v[vgprValuC+39], v35, v[vgprValuC+39]   // finalSum = sum*alpha + C*beta
_ds_store_b128 v7, v[36:39], offset:64             // storeRemap lw
	;; [unrolled: 11-line block ×3, first 2 shown]

/* Handle local read and global write */
s_waitcnt lgkmcnt(0)                               // wait for LDS write
s_barrier //wait all lds write finished

_ds_load_b128 v[16:19], v8, offset:0               // storeRemap lr
_ds_load_b128 v[20:23], v8, offset:1056            // storeRemap lr
_ds_load_b128 v[24:27], v8, offset:2112            // storeRemap lr
	;; [unrolled: 1-line block ×3, first 2 shown]

v_mov_b32 v13, v6                                  // coord1
v_mul_lo_u32 v13, v13, s[sgprStrideD1J]            // coord1 offset =  coord1 * StrideD
_v_add_lshl_u32 v13, v13, v4, 0x2                  // global write D address
s_waitcnt lgkmcnt(3)                               // wait for LDS read
_buffer_store_b128 v[16:19], v13, s[sgprSrdD:sgprSrdD+3], 0, offen, offset:0 // store D
_v_add_u32 v13, v6, 2                              // coord1 += nColPerLoad
v_mul_lo_u32 v13, v13, s[sgprStrideD1J]            // coord1 offset =  coord1 * StrideD
_v_add_lshl_u32 v13, v13, v4, 0x2                  // global write D address
s_waitcnt lgkmcnt(2)                               // wait for LDS read
_buffer_store_b128 v[20:23], v13, s[sgprSrdD:sgprSrdD+3], 0, offen, offset:0 // store D
_v_add_u32 v13, v6, 4                              // coord1 += nColPerLoad
v_mul_lo_u32 v13, v13, s[sgprStrideD1J]            // coord1 offset =  coord1 * StrideD
_v_add_lshl_u32 v13, v13, v4, 0x2                  // global write D address
s_waitcnt lgkmcnt(1)                               // wait for LDS read
_buffer_store_b128 v[24:27], v13, s[sgprSrdD:sgprSrdD+3], 0, offen, offset:0 // store D
_v_add_u32 v13, v6, 6                              // coord1 += nColPerLoad
v_mul_lo_u32 v13, v13, s[sgprStrideD1J]            // coord1 offset =  coord1 * StrideD
_v_add_lshl_u32 v13, v13, v4, 0x2                  // global write D address
s_waitcnt lgkmcnt(0)                               // wait for LDS read
_buffer_store_b128 v[28:31], v13, s[sgprSrdD:sgprSrdD+3], 0, offen, offset:0 // store D

s_barrier //wait all lds read finished
s_nop 0                                            // 1 wait state required when next inst writes vgprs held by previous dwordx4 store inst
/* optSingleColVgpr=1 optSharedColVgpr=0 optSGPRUsage=BufferLoad_Mask optSrdIncForRow=1 */

/******************************************/
/* Global Write Alpha Beta Batch #2 (d1,d0,vc1,vc0) = */
/*    (2,0,0,0:vw4); (2,1,0,0:vw4); (2,2,0,0:vw4); (2,3,0,0:vw4) */
/******************************************/

/* calc coords, apply mask, and issue loads (if necessary) */
/* (d1,vc1,d0,vc0)=(2,0,0,0) */
s_mul_i32 s52, s[sgprStrideC1J], 128               // scale StrideC *= numRows(32) * bpe
s_add_u32  s[sgprSrdC+0], s[sgprSrdC+0], s52       // incToNextRow: gra SRD += inc(lower)
s_addc_u32  s[sgprSrdC+1], s[sgprSrdC+1], 0        // incToNextRow: gra SRD += inc(upper)
_buffer_load_b128 v[16:19], v12, s[sgprSrdC:sgprSrdC+3], 0, offen offset:0 // load C for beta calc
/* (d1,vc1,d0,vc0)=(2,0,1,0) */
_buffer_load_b128 v[24:27], v12, s[sgprSrdC:sgprSrdC+3], 0, offen offset:32 // load C for beta calc
/* (d1,vc1,d0,vc0)=(2,0,2,0) */
	;; [unrolled: 2-line block ×3, first 2 shown]
_buffer_load_b128 v[40:43], v12, s[sgprSrdC:sgprSrdC+3], 0, offen offset:96 // load C for beta calc
v_accvgpr_read_b32 v[vgprValuC+20], acc32 // copy acc to vreg[32]
v_accvgpr_read_b32 v[vgprValuC+21], acc33 // copy acc to vreg[33]
v_accvgpr_read_b32 v[vgprValuC+22], acc34 // copy acc to vreg[34]
v_accvgpr_read_b32 v[vgprValuC+23], acc35 // copy acc to vreg[35]
v_accvgpr_read_b32 v[vgprValuC+28], acc36 // copy acc to vreg[36]
v_accvgpr_read_b32 v[vgprValuC+29], acc37 // copy acc to vreg[37]
v_accvgpr_read_b32 v[vgprValuC+30], acc38 // copy acc to vreg[38]
v_accvgpr_read_b32 v[vgprValuC+31], acc39 // copy acc to vreg[39]
v_accvgpr_read_b32 v[vgprValuC+36], acc40 // copy acc to vreg[40]
v_accvgpr_read_b32 v[vgprValuC+37], acc41 // copy acc to vreg[41]
v_accvgpr_read_b32 v[vgprValuC+38], acc42 // copy acc to vreg[42]
v_accvgpr_read_b32 v[vgprValuC+39], acc43 // copy acc to vreg[43]
v_accvgpr_read_b32 v[vgprValuC+44], acc44 // copy acc to vreg[44]
v_accvgpr_read_b32 v[vgprValuC+45], acc45 // copy acc to vreg[45]
v_accvgpr_read_b32 v[vgprValuC+46], acc46 // copy acc to vreg[46]
v_accvgpr_read_b32 v[vgprValuC+47], acc47 // copy acc to vreg[47]
s_nop 1                                            // 2 wait states required before reading vgpr

/* rC *= alpha batchElements=[(2, 0, 0, 0), (2, 1, 0, 0), (2, 2, 0, 0), (2, 3, 0, 0)] */
v_mul_lo_u32 v[vgprValuC+20], s[sgprAlpha], v[vgprValuC+20] // *= alpha
v_mul_lo_u32 v[vgprValuC+21], s[sgprAlpha], v[vgprValuC+21] // *= alpha
	;; [unrolled: 1-line block ×16, first 2 shown]

/* apply mask, calc new C and issue writes */

/* StoreRemap: shift coord1 address */
s_mul_i32 s52, s[sgprStrideD1J], 128               // scale StrideD *= numRows(32) * bpe
s_add_u32  s[sgprSrdD+0], s[sgprSrdD+0], s52       // incToNextRow: gra SRD += inc(lower)
s_addc_u32  s[sgprSrdD+1], s[sgprSrdD+1], 0        // incToNextRow: gra SRD += inc(upper)
v_mov_b32 v10, 32                                  // set shift rows
_v_add_u32 v5, v5, v10                             // shift storeRemap coord1

s_waitcnt vmcnt(3)                                 // wait C (interleaved) 3 = 4 - 0 + 0 - 1
v_mul_lo_u32 v16, s[sgprBeta], v16                 // C = C*beta
_v_add_u32 v[vgprValuC+20], v16, v[vgprValuC+20]   // finalSum = sum*alpha + C*beta
v_mul_lo_u32 v17, s[sgprBeta], v17                 // C = C*beta
_v_add_u32 v[vgprValuC+21], v17, v[vgprValuC+21]   // finalSum = sum*alpha + C*beta
	;; [unrolled: 2-line block ×4, first 2 shown]
_ds_store_b128 v7, v[20:23], offset:0              // storeRemap lw

s_waitcnt vmcnt(2)                                 // wait C (interleaved) 2 = 4 - 1 + 0 - 1
v_mul_lo_u32 v24, s[sgprBeta], v24                 // C = C*beta
_v_add_u32 v[vgprValuC+28], v24, v[vgprValuC+28]   // finalSum = sum*alpha + C*beta
v_mul_lo_u32 v25, s[sgprBeta], v25                 // C = C*beta
_v_add_u32 v[vgprValuC+29], v25, v[vgprValuC+29]   // finalSum = sum*alpha + C*beta
v_mul_lo_u32 v26, s[sgprBeta], v26                 // C = C*beta
_v_add_u32 v[vgprValuC+30], v26, v[vgprValuC+30]   // finalSum = sum*alpha + C*beta
v_mul_lo_u32 v27, s[sgprBeta], v27                 // C = C*beta
_v_add_u32 v[vgprValuC+31], v27, v[vgprValuC+31]   // finalSum = sum*alpha + C*beta
_ds_store_b128 v7, v[28:31], offset:32             // storeRemap lw

s_waitcnt vmcnt(1)                                 // wait C (interleaved) 1 = 4 - 2 + 0 - 1
v_mul_lo_u32 v32, s[sgprBeta], v32                 // C = C*beta
_v_add_u32 v[vgprValuC+36], v32, v[vgprValuC+36]   // finalSum = sum*alpha + C*beta
v_mul_lo_u32 v33, s[sgprBeta], v33                 // C = C*beta
_v_add_u32 v[vgprValuC+37], v33, v[vgprValuC+37]   // finalSum = sum*alpha + C*beta
v_mul_lo_u32 v34, s[sgprBeta], v34                 // C = C*beta
_v_add_u32 v[vgprValuC+38], v34, v[vgprValuC+38]   // finalSum = sum*alpha + C*beta
v_mul_lo_u32 v35, s[sgprBeta], v35                 // C = C*beta
_v_add_u32 v[vgprValuC+39], v35, v[vgprValuC+39]   // finalSum = sum*alpha + C*beta
_ds_store_b128 v7, v[36:39], offset:64             // storeRemap lw

s_waitcnt vmcnt(0)                                 // wait C (interleaved) 0 = 4 - 3 + 0 - 1
v_mul_lo_u32 v40, s[sgprBeta], v40                 // C = C*beta
_v_add_u32 v[vgprValuC+44], v40, v[vgprValuC+44]   // finalSum = sum*alpha + C*beta
v_mul_lo_u32 v41, s[sgprBeta], v41                 // C = C*beta
_v_add_u32 v[vgprValuC+45], v41, v[vgprValuC+45]   // finalSum = sum*alpha + C*beta
v_mul_lo_u32 v42, s[sgprBeta], v42                 // C = C*beta
_v_add_u32 v[vgprValuC+46], v42, v[vgprValuC+46]   // finalSum = sum*alpha + C*beta
v_mul_lo_u32 v43, s[sgprBeta], v43                 // C = C*beta
_v_add_u32 v[vgprValuC+47], v43, v[vgprValuC+47]   // finalSum = sum*alpha + C*beta
_ds_store_b128 v7, v[44:47], offset:96             // storeRemap lw

/* Handle local read and global write */
s_waitcnt lgkmcnt(0)                               // wait for LDS write
s_barrier //wait all lds write finished

_ds_load_b128 v[16:19], v8, offset:0               // storeRemap lr
_ds_load_b128 v[20:23], v8, offset:1056            // storeRemap lr
_ds_load_b128 v[24:27], v8, offset:2112            // storeRemap lr
	;; [unrolled: 1-line block ×3, first 2 shown]

v_mov_b32 v13, v6                                  // coord1
v_mul_lo_u32 v13, v13, s[sgprStrideD1J]            // coord1 offset =  coord1 * StrideD
_v_add_lshl_u32 v13, v13, v4, 0x2                  // global write D address
s_waitcnt lgkmcnt(3)                               // wait for LDS read
_buffer_store_b128 v[16:19], v13, s[sgprSrdD:sgprSrdD+3], 0, offen, offset:0 // store D
_v_add_u32 v13, v6, 2                              // coord1 += nColPerLoad
v_mul_lo_u32 v13, v13, s[sgprStrideD1J]            // coord1 offset =  coord1 * StrideD
_v_add_lshl_u32 v13, v13, v4, 0x2                  // global write D address
s_waitcnt lgkmcnt(2)                               // wait for LDS read
_buffer_store_b128 v[20:23], v13, s[sgprSrdD:sgprSrdD+3], 0, offen, offset:0 // store D
_v_add_u32 v13, v6, 4                              // coord1 += nColPerLoad
	;; [unrolled: 5-line block ×3, first 2 shown]
v_mul_lo_u32 v13, v13, s[sgprStrideD1J]            // coord1 offset =  coord1 * StrideD
_v_add_lshl_u32 v13, v13, v4, 0x2                  // global write D address
s_waitcnt lgkmcnt(0)                               // wait for LDS read
_buffer_store_b128 v[28:31], v13, s[sgprSrdD:sgprSrdD+3], 0, offen, offset:0 // store D

s_barrier //wait all lds read finished
s_nop 0                                            // 1 wait state required when next inst writes vgprs held by previous dwordx4 store inst
s_branch label_GW_End_43                           // jump to end
GW_B1_E1_42:

/* edge=1, allocate 6 sgpr. perBatchTmpS=4 perBatchMaskS=2 perElementMaskS=0 elementsPerBatch=4 */
/* optSingleColVgpr=0 optSharedColVgpr=0 optSGPRUsage=BufferLoad_Edge_Mask optSrdIncForRow=1 */

/******************************************/
/* Global Write Alpha Beta Edge Batch #0 (d1,d0,vc1,vc0) = */
/*    (0,0,0,0:vw4); (0,1,0,0:vw4); (0,2,0,0:vw4); (0,3,0,0:vw4) */
/******************************************/

/* calc coords, apply mask, and issue loads (if necessary) */
/* (d1,vc1,d0,vc0)=(0,0,0,0) */
v_cmp_lt_u32 s[52:53], v0, s[sgprSizeI]            // coord0 < size0
v_cmp_lt_u32 s[56:57], v1, s[sgprSizeJ]            // coord1 < size1
s_and_b64 s[56:57], s[52:53], s[56:57]             // in0 && in1
_v_add_lshl_u32 v9, v2, v0, 0x2                    // scaleToBpe: accumulate d0 lower and *= bpe into Cin addr
v_cndmask_b32 v9, -1, v9, s[56:57]                 // LDC clip if OOB. offset
_buffer_load_b128 v[12:15], v9, s[sgprSrdC:sgprSrdC+3], 0, offen offset:0 // load C for beta calc
_v_add_lshl_u32 v9, v3, v0, 0x2                    // scaleToBpe: accumulate d0 lower and *= bpe into Cin addr
v_cndmask_b32 v9, -1, v9, s[56:57]                 // LDD clip if OOB. offset
/* (d1,vc1,d0,vc0)=(0,0,1,0) */
_v_add_co_u32 v10, vcc, v0, 8                      // coord0.1: coord0 += d0*sg0*VW + vc0
v_cmp_lt_u32 s[52:53], v10, s[sgprSizeI]           // coord0 < size0
v_cmp_lt_u32 s[56:57], v1, s[sgprSizeJ]            // coord1 < size1
s_and_b64 s[56:57], s[52:53], s[56:57]             // in0 && in1
_v_add_lshl_u32 v20, v2, v10, 0x2                  // scaleToBpe: accumulate d0 lower and *= bpe into Cin addr
v_cndmask_b32 v20, -1, v20, s[56:57]               // LDC clip if OOB. offset
_buffer_load_b128 v[24:27], v20, s[sgprSrdC:sgprSrdC+3], 0, offen offset:0 // load C for beta calc
_v_add_lshl_u32 v20, v3, v10, 0x2                  // scaleToBpe: accumulate d0 lower and *= bpe into Cin addr
v_cndmask_b32 v20, -1, v20, s[56:57]               // LDD clip if OOB. offset
/* (d1,vc1,d0,vc0)=(0,0,2,0) */
_v_add_co_u32 v10, vcc, v0, 16                     // coord0.1: coord0 += d0*sg0*VW + vc0
v_cmp_lt_u32 s[52:53], v10, s[sgprSizeI]           // coord0 < size0
v_cmp_lt_u32 s[56:57], v1, s[sgprSizeJ]            // coord1 < size1
s_and_b64 s[56:57], s[52:53], s[56:57]             // in0 && in1
_v_add_lshl_u32 v21, v2, v10, 0x2                  // scaleToBpe: accumulate d0 lower and *= bpe into Cin addr
v_cndmask_b32 v21, -1, v21, s[56:57]               // LDC clip if OOB. offset
_buffer_load_b128 v[32:35], v21, s[sgprSrdC:sgprSrdC+3], 0, offen offset:0 // load C for beta calc
_v_add_lshl_u32 v21, v3, v10, 0x2                  // scaleToBpe: accumulate d0 lower and *= bpe into Cin addr
v_cndmask_b32 v21, -1, v21, s[56:57]               // LDD clip if OOB. offset
/* (d1,vc1,d0,vc0)=(0,0,3,0) */
_v_add_co_u32 v10, vcc, v0, 24                     // coord0.1: coord0 += d0*sg0*VW + vc0
v_cmp_lt_u32 s[52:53], v10, s[sgprSizeI]           // coord0 < size0
v_cmp_lt_u32 s[56:57], v1, s[sgprSizeJ]            // coord1 < size1
s_and_b64 s[56:57], s[52:53], s[56:57]             // in0 && in1
_v_add_lshl_u32 v22, v2, v10, 0x2                  // scaleToBpe: accumulate d0 lower and *= bpe into Cin addr
v_cndmask_b32 v22, -1, v22, s[56:57]               // LDC clip if OOB. offset
_buffer_load_b128 v[40:43], v22, s[sgprSrdC:sgprSrdC+3], 0, offen offset:0 // load C for beta calc
_v_add_lshl_u32 v22, v3, v10, 0x2                  // scaleToBpe: accumulate d0 lower and *= bpe into Cin addr
v_cndmask_b32 v22, -1, v22, s[56:57]               // LDD clip if OOB. offset
v_accvgpr_read_b32 v[vgprValuC+16], acc0 // copy acc to vreg[0]
v_accvgpr_read_b32 v[vgprValuC+17], acc1 // copy acc to vreg[1]
v_accvgpr_read_b32 v[vgprValuC+18], acc2 // copy acc to vreg[2]
v_accvgpr_read_b32 v[vgprValuC+19], acc3 // copy acc to vreg[3]
v_accvgpr_read_b32 v[vgprValuC+28], acc4 // copy acc to vreg[4]
v_accvgpr_read_b32 v[vgprValuC+29], acc5 // copy acc to vreg[5]
v_accvgpr_read_b32 v[vgprValuC+30], acc6 // copy acc to vreg[6]
v_accvgpr_read_b32 v[vgprValuC+31], acc7 // copy acc to vreg[7]
v_accvgpr_read_b32 v[vgprValuC+36], acc8 // copy acc to vreg[8]
v_accvgpr_read_b32 v[vgprValuC+37], acc9 // copy acc to vreg[9]
v_accvgpr_read_b32 v[vgprValuC+38], acc10 // copy acc to vreg[10]
v_accvgpr_read_b32 v[vgprValuC+39], acc11 // copy acc to vreg[11]
v_accvgpr_read_b32 v[vgprValuC+44], acc12 // copy acc to vreg[12]
v_accvgpr_read_b32 v[vgprValuC+45], acc13 // copy acc to vreg[13]
v_accvgpr_read_b32 v[vgprValuC+46], acc14 // copy acc to vreg[14]
v_accvgpr_read_b32 v[vgprValuC+47], acc15 // copy acc to vreg[15]
s_nop 1                                            // 2 wait states required before reading vgpr

/* rC *= alpha batchElements=[(0, 0, 0, 0), (0, 1, 0, 0), (0, 2, 0, 0), (0, 3, 0, 0)] */
v_mul_lo_u32 v[vgprValuC+16], s[sgprAlpha], v[vgprValuC+16] // *= alpha
v_mul_lo_u32 v[vgprValuC+17], s[sgprAlpha], v[vgprValuC+17] // *= alpha
	;; [unrolled: 1-line block ×16, first 2 shown]
s_waitcnt vmcnt(0)                                 // wait C

/* apply mask, calc new C and issue writes */
v_mul_lo_u32 v12, s[sgprBeta], v12                 // C = C*beta
_v_add_u32 v[vgprValuC+16], v12, v[vgprValuC+16]   // finalSum = sum*alpha + C*beta
v_mul_lo_u32 v13, s[sgprBeta], v13                 // C = C*beta
_v_add_u32 v[vgprValuC+17], v13, v[vgprValuC+17]   // finalSum = sum*alpha + C*beta
	;; [unrolled: 2-line block ×4, first 2 shown]
_ds_store_b128 v7, v[16:19], offset:0              // storeRemap lw
v_mul_lo_u32 v24, s[sgprBeta], v24                 // C = C*beta
_v_add_u32 v[vgprValuC+28], v24, v[vgprValuC+28]   // finalSum = sum*alpha + C*beta
v_mul_lo_u32 v25, s[sgprBeta], v25                 // C = C*beta
_v_add_u32 v[vgprValuC+29], v25, v[vgprValuC+29]   // finalSum = sum*alpha + C*beta
v_mul_lo_u32 v26, s[sgprBeta], v26                 // C = C*beta
_v_add_u32 v[vgprValuC+30], v26, v[vgprValuC+30]   // finalSum = sum*alpha + C*beta
v_mul_lo_u32 v27, s[sgprBeta], v27                 // C = C*beta
_v_add_u32 v[vgprValuC+31], v27, v[vgprValuC+31]   // finalSum = sum*alpha + C*beta
_ds_store_b128 v7, v[28:31], offset:32             // storeRemap lw
v_mul_lo_u32 v32, s[sgprBeta], v32                 // C = C*beta
_v_add_u32 v[vgprValuC+36], v32, v[vgprValuC+36]   // finalSum = sum*alpha + C*beta
v_mul_lo_u32 v33, s[sgprBeta], v33                 // C = C*beta
_v_add_u32 v[vgprValuC+37], v33, v[vgprValuC+37]   // finalSum = sum*alpha + C*beta
v_mul_lo_u32 v34, s[sgprBeta], v34                 // C = C*beta
_v_add_u32 v[vgprValuC+38], v34, v[vgprValuC+38]   // finalSum = sum*alpha + C*beta
v_mul_lo_u32 v35, s[sgprBeta], v35                 // C = C*beta
_v_add_u32 v[vgprValuC+39], v35, v[vgprValuC+39]   // finalSum = sum*alpha + C*beta
_ds_store_b128 v7, v[36:39], offset:64             // storeRemap lw
	;; [unrolled: 9-line block ×3, first 2 shown]

/* Handle local read and global write */
s_waitcnt lgkmcnt(0)                               // wait for LDS write
s_barrier //wait all lds write finished

_ds_load_b128 v[12:15], v8, offset:0               // storeRemap lr
_ds_load_b128 v[16:19], v8, offset:1056            // storeRemap lr
_ds_load_b128 v[20:23], v8, offset:2112            // storeRemap lr
	;; [unrolled: 1-line block ×3, first 2 shown]

s_waitcnt lgkmcnt(3)                               // wait for LDS read
_v_add_u32 v11, v5, 0                              // coord1 += nColPerLoad
_v_add_u32 v10, v4, 0                              // coord0 += element index of load vector
_v_add_u32 v9, v6, 0                               // offset coord1 += nColPerLoad
v_cmp_lt_u32 s[52:53], v10, s[sgprSizeI]           // coord0 < size0
v_cmp_lt_u32 s[54:55], v11, s[sgprSizeJ]           // coord1 < size1
s_and_b64 s[54:55], s[52:53], s[54:55]             // in0 && in1
v_mul_lo_u32 v9, v9, s[sgprStrideD1J]              // coord1 element offset =  coord1 * StrideD
_v_add_lshl_u32 v9, v9, v10, 0x2                   // scale to BPE
v_cndmask_b32 v9, -1, v9, s[54:55]                 // clip if OOB. offset
_buffer_store_b128 v[12:15], v9, s[sgprSrdD:sgprSrdD+3], 0, offen, offset:0 // store D
s_waitcnt lgkmcnt(2)                               // wait for LDS read
_v_add_u32 v11, v5, 2                              // coord1 += nColPerLoad
_v_add_u32 v10, v4, 0                              // coord0 += element index of load vector
_v_add_u32 v9, v6, 2                               // offset coord1 += nColPerLoad
v_cmp_lt_u32 s[52:53], v10, s[sgprSizeI]           // coord0 < size0
v_cmp_lt_u32 s[54:55], v11, s[sgprSizeJ]           // coord1 < size1
s_and_b64 s[54:55], s[52:53], s[54:55]             // in0 && in1
v_mul_lo_u32 v9, v9, s[sgprStrideD1J]              // coord1 element offset =  coord1 * StrideD
_v_add_lshl_u32 v9, v9, v10, 0x2                   // scale to BPE
v_cndmask_b32 v9, -1, v9, s[54:55]                 // clip if OOB. offset
_buffer_store_b128 v[16:19], v9, s[sgprSrdD:sgprSrdD+3], 0, offen, offset:0 // store D
	;; [unrolled: 11-line block ×4, first 2 shown]

s_barrier //wait all lds read finished
s_nop 0                                            // 1 wait state required when next inst writes vgprs held by previous dwordx4 store inst
/* optSingleColVgpr=0 optSharedColVgpr=0 optSGPRUsage=BufferLoad_Edge_Mask optSrdIncForRow=1 */

/******************************************/
/* Global Write Alpha Beta Edge Batch #1 (d1,d0,vc1,vc0) = */
/*    (1,0,0,0:vw4); (1,1,0,0:vw4); (1,2,0,0:vw4); (1,3,0,0:vw4) */
/******************************************/

/* calc coords, apply mask, and issue loads (if necessary) */
/* (d1,vc1,d0,vc0)=(1,0,0,0) */
_v_add_co_u32 v1, vcc, v1, 32                      // coord1.1: coord1Vgpr += d1*sg1*VW + vc1
v_cmp_lt_u32 s[52:53], v0, s[sgprSizeI]            // coord0 < size0
v_cmp_lt_u32 s[56:57], v1, s[sgprSizeJ]            // coord1 < size1
s_and_b64 s[56:57], s[52:53], s[56:57]             // in0 && in1
_v_add_lshl_u32 v9, v2, v0, 0x2                    // scaleToBpe: accumulate d0 lower and *= bpe into Cin addr
v_cndmask_b32 v9, -1, v9, s[56:57]                 // LDC clip if OOB. offset
s_mul_i32 s52, s[sgprStrideC1J], 128               // scale StrideC *= numRows(32) * bpe
s_add_u32  s[sgprSrdC+0], s[sgprSrdC+0], s52       // incToNextRow: gra SRD += inc(lower)
s_addc_u32  s[sgprSrdC+1], s[sgprSrdC+1], 0        // incToNextRow: gra SRD += inc(upper)
_buffer_load_b128 v[12:15], v9, s[sgprSrdC:sgprSrdC+3], 0, offen offset:0 // load C for beta calc
_v_add_lshl_u32 v9, v3, v0, 0x2                    // scaleToBpe: accumulate d0 lower and *= bpe into Cin addr
v_cndmask_b32 v9, -1, v9, s[56:57]                 // LDD clip if OOB. offset
/* (d1,vc1,d0,vc0)=(1,0,1,0) */
_v_add_co_u32 v10, vcc, v0, 8                      // coord0.1: coord0 += d0*sg0*VW + vc0
v_cmp_lt_u32 s[52:53], v10, s[sgprSizeI]           // coord0 < size0
v_cmp_lt_u32 s[56:57], v1, s[sgprSizeJ]            // coord1 < size1
s_and_b64 s[56:57], s[52:53], s[56:57]             // in0 && in1
_v_add_lshl_u32 v20, v2, v10, 0x2                  // scaleToBpe: accumulate d0 lower and *= bpe into Cin addr
v_cndmask_b32 v20, -1, v20, s[56:57]               // LDC clip if OOB. offset
_buffer_load_b128 v[24:27], v20, s[sgprSrdC:sgprSrdC+3], 0, offen offset:0 // load C for beta calc
_v_add_lshl_u32 v20, v3, v10, 0x2                  // scaleToBpe: accumulate d0 lower and *= bpe into Cin addr
v_cndmask_b32 v20, -1, v20, s[56:57]               // LDD clip if OOB. offset
/* (d1,vc1,d0,vc0)=(1,0,2,0) */
_v_add_co_u32 v10, vcc, v0, 16                     // coord0.1: coord0 += d0*sg0*VW + vc0
v_cmp_lt_u32 s[52:53], v10, s[sgprSizeI]           // coord0 < size0
v_cmp_lt_u32 s[56:57], v1, s[sgprSizeJ]            // coord1 < size1
s_and_b64 s[56:57], s[52:53], s[56:57]             // in0 && in1
_v_add_lshl_u32 v21, v2, v10, 0x2                  // scaleToBpe: accumulate d0 lower and *= bpe into Cin addr
v_cndmask_b32 v21, -1, v21, s[56:57]               // LDC clip if OOB. offset
_buffer_load_b128 v[32:35], v21, s[sgprSrdC:sgprSrdC+3], 0, offen offset:0 // load C for beta calc
_v_add_lshl_u32 v21, v3, v10, 0x2                  // scaleToBpe: accumulate d0 lower and *= bpe into Cin addr
v_cndmask_b32 v21, -1, v21, s[56:57]               // LDD clip if OOB. offset
/* (d1,vc1,d0,vc0)=(1,0,3,0) */
_v_add_co_u32 v10, vcc, v0, 24                     // coord0.1: coord0 += d0*sg0*VW + vc0
v_cmp_lt_u32 s[52:53], v10, s[sgprSizeI]           // coord0 < size0
v_cmp_lt_u32 s[56:57], v1, s[sgprSizeJ]            // coord1 < size1
s_and_b64 s[56:57], s[52:53], s[56:57]             // in0 && in1
_v_add_lshl_u32 v22, v2, v10, 0x2                  // scaleToBpe: accumulate d0 lower and *= bpe into Cin addr
v_cndmask_b32 v22, -1, v22, s[56:57]               // LDC clip if OOB. offset
_buffer_load_b128 v[40:43], v22, s[sgprSrdC:sgprSrdC+3], 0, offen offset:0 // load C for beta calc
_v_add_lshl_u32 v22, v3, v10, 0x2                  // scaleToBpe: accumulate d0 lower and *= bpe into Cin addr
v_cndmask_b32 v22, -1, v22, s[56:57]               // LDD clip if OOB. offset
v_accvgpr_read_b32 v[vgprValuC+16], acc16 // copy acc to vreg[16]
v_accvgpr_read_b32 v[vgprValuC+17], acc17 // copy acc to vreg[17]
v_accvgpr_read_b32 v[vgprValuC+18], acc18 // copy acc to vreg[18]
v_accvgpr_read_b32 v[vgprValuC+19], acc19 // copy acc to vreg[19]
v_accvgpr_read_b32 v[vgprValuC+28], acc20 // copy acc to vreg[20]
v_accvgpr_read_b32 v[vgprValuC+29], acc21 // copy acc to vreg[21]
v_accvgpr_read_b32 v[vgprValuC+30], acc22 // copy acc to vreg[22]
v_accvgpr_read_b32 v[vgprValuC+31], acc23 // copy acc to vreg[23]
v_accvgpr_read_b32 v[vgprValuC+36], acc24 // copy acc to vreg[24]
v_accvgpr_read_b32 v[vgprValuC+37], acc25 // copy acc to vreg[25]
v_accvgpr_read_b32 v[vgprValuC+38], acc26 // copy acc to vreg[26]
v_accvgpr_read_b32 v[vgprValuC+39], acc27 // copy acc to vreg[27]
v_accvgpr_read_b32 v[vgprValuC+44], acc28 // copy acc to vreg[28]
v_accvgpr_read_b32 v[vgprValuC+45], acc29 // copy acc to vreg[29]
v_accvgpr_read_b32 v[vgprValuC+46], acc30 // copy acc to vreg[30]
v_accvgpr_read_b32 v[vgprValuC+47], acc31 // copy acc to vreg[31]
s_nop 1                                            // 2 wait states required before reading vgpr

/* rC *= alpha batchElements=[(1, 0, 0, 0), (1, 1, 0, 0), (1, 2, 0, 0), (1, 3, 0, 0)] */
v_mul_lo_u32 v[vgprValuC+16], s[sgprAlpha], v[vgprValuC+16] // *= alpha
v_mul_lo_u32 v[vgprValuC+17], s[sgprAlpha], v[vgprValuC+17] // *= alpha
	;; [unrolled: 1-line block ×16, first 2 shown]
s_waitcnt vmcnt(0)                                 // wait C

/* apply mask, calc new C and issue writes */

/* StoreRemap: shift coord1 address */
s_mul_i32 s52, s[sgprStrideD1J], 128               // scale StrideD *= numRows(32) * bpe
s_add_u32  s[sgprSrdD+0], s[sgprSrdD+0], s52       // incToNextRow: gra SRD += inc(lower)
s_addc_u32  s[sgprSrdD+1], s[sgprSrdD+1], 0        // incToNextRow: gra SRD += inc(upper)
v_mov_b32 v10, 32                                  // set shift rows
_v_add_u32 v5, v5, v10                             // shift storeRemap coord1
v_mul_lo_u32 v12, s[sgprBeta], v12                 // C = C*beta
_v_add_u32 v[vgprValuC+16], v12, v[vgprValuC+16]   // finalSum = sum*alpha + C*beta
v_mul_lo_u32 v13, s[sgprBeta], v13                 // C = C*beta
_v_add_u32 v[vgprValuC+17], v13, v[vgprValuC+17]   // finalSum = sum*alpha + C*beta
	;; [unrolled: 2-line block ×4, first 2 shown]
_ds_store_b128 v7, v[16:19], offset:0              // storeRemap lw
v_mul_lo_u32 v24, s[sgprBeta], v24                 // C = C*beta
_v_add_u32 v[vgprValuC+28], v24, v[vgprValuC+28]   // finalSum = sum*alpha + C*beta
v_mul_lo_u32 v25, s[sgprBeta], v25                 // C = C*beta
_v_add_u32 v[vgprValuC+29], v25, v[vgprValuC+29]   // finalSum = sum*alpha + C*beta
v_mul_lo_u32 v26, s[sgprBeta], v26                 // C = C*beta
_v_add_u32 v[vgprValuC+30], v26, v[vgprValuC+30]   // finalSum = sum*alpha + C*beta
v_mul_lo_u32 v27, s[sgprBeta], v27                 // C = C*beta
_v_add_u32 v[vgprValuC+31], v27, v[vgprValuC+31]   // finalSum = sum*alpha + C*beta
_ds_store_b128 v7, v[28:31], offset:32             // storeRemap lw
v_mul_lo_u32 v32, s[sgprBeta], v32                 // C = C*beta
_v_add_u32 v[vgprValuC+36], v32, v[vgprValuC+36]   // finalSum = sum*alpha + C*beta
v_mul_lo_u32 v33, s[sgprBeta], v33                 // C = C*beta
_v_add_u32 v[vgprValuC+37], v33, v[vgprValuC+37]   // finalSum = sum*alpha + C*beta
v_mul_lo_u32 v34, s[sgprBeta], v34                 // C = C*beta
_v_add_u32 v[vgprValuC+38], v34, v[vgprValuC+38]   // finalSum = sum*alpha + C*beta
v_mul_lo_u32 v35, s[sgprBeta], v35                 // C = C*beta
_v_add_u32 v[vgprValuC+39], v35, v[vgprValuC+39]   // finalSum = sum*alpha + C*beta
_ds_store_b128 v7, v[36:39], offset:64             // storeRemap lw
	;; [unrolled: 9-line block ×3, first 2 shown]

/* Handle local read and global write */
s_waitcnt lgkmcnt(0)                               // wait for LDS write
s_barrier //wait all lds write finished

_ds_load_b128 v[12:15], v8, offset:0               // storeRemap lr
_ds_load_b128 v[16:19], v8, offset:1056            // storeRemap lr
_ds_load_b128 v[20:23], v8, offset:2112            // storeRemap lr
_ds_load_b128 v[24:27], v8, offset:3168            // storeRemap lr

s_waitcnt lgkmcnt(3)                               // wait for LDS read
_v_add_u32 v11, v5, 0                              // coord1 += nColPerLoad
_v_add_u32 v10, v4, 0                              // coord0 += element index of load vector
_v_add_u32 v9, v6, 0                               // offset coord1 += nColPerLoad
v_cmp_lt_u32 s[52:53], v10, s[sgprSizeI]           // coord0 < size0
v_cmp_lt_u32 s[54:55], v11, s[sgprSizeJ]           // coord1 < size1
s_and_b64 s[54:55], s[52:53], s[54:55]             // in0 && in1
v_mul_lo_u32 v9, v9, s[sgprStrideD1J]              // coord1 element offset =  coord1 * StrideD
_v_add_lshl_u32 v9, v9, v10, 0x2                   // scale to BPE
v_cndmask_b32 v9, -1, v9, s[54:55]                 // clip if OOB. offset
_buffer_store_b128 v[12:15], v9, s[sgprSrdD:sgprSrdD+3], 0, offen, offset:0 // store D
s_waitcnt lgkmcnt(2)                               // wait for LDS read
_v_add_u32 v11, v5, 2                              // coord1 += nColPerLoad
_v_add_u32 v10, v4, 0                              // coord0 += element index of load vector
_v_add_u32 v9, v6, 2                               // offset coord1 += nColPerLoad
v_cmp_lt_u32 s[52:53], v10, s[sgprSizeI]           // coord0 < size0
v_cmp_lt_u32 s[54:55], v11, s[sgprSizeJ]           // coord1 < size1
s_and_b64 s[54:55], s[52:53], s[54:55]             // in0 && in1
v_mul_lo_u32 v9, v9, s[sgprStrideD1J]              // coord1 element offset =  coord1 * StrideD
_v_add_lshl_u32 v9, v9, v10, 0x2                   // scale to BPE
v_cndmask_b32 v9, -1, v9, s[54:55]                 // clip if OOB. offset
_buffer_store_b128 v[16:19], v9, s[sgprSrdD:sgprSrdD+3], 0, offen, offset:0 // store D
	;; [unrolled: 11-line block ×4, first 2 shown]

s_barrier //wait all lds read finished
s_nop 0                                            // 1 wait state required when next inst writes vgprs held by previous dwordx4 store inst
/* optSingleColVgpr=0 optSharedColVgpr=0 optSGPRUsage=BufferLoad_Edge_Mask optSrdIncForRow=1 */

/******************************************/
/* Global Write Alpha Beta Edge Batch #2 (d1,d0,vc1,vc0) = */
/*    (2,0,0,0:vw4); (2,1,0,0:vw4); (2,2,0,0:vw4); (2,3,0,0:vw4) */
/******************************************/

/* calc coords, apply mask, and issue loads (if necessary) */
/* (d1,vc1,d0,vc0)=(2,0,0,0) */
_v_add_co_u32 v1, vcc, v1, 32                      // coord1.1: coord1Vgpr += d1*sg1*VW + vc1
v_cmp_lt_u32 s[52:53], v0, s[sgprSizeI]            // coord0 < size0
v_cmp_lt_u32 s[56:57], v1, s[sgprSizeJ]            // coord1 < size1
s_and_b64 s[56:57], s[52:53], s[56:57]             // in0 && in1
_v_add_lshl_u32 v9, v2, v0, 0x2                    // scaleToBpe: accumulate d0 lower and *= bpe into Cin addr
v_cndmask_b32 v9, -1, v9, s[56:57]                 // LDC clip if OOB. offset
s_mul_i32 s52, s[sgprStrideC1J], 128               // scale StrideC *= numRows(32) * bpe
s_add_u32  s[sgprSrdC+0], s[sgprSrdC+0], s52       // incToNextRow: gra SRD += inc(lower)
s_addc_u32  s[sgprSrdC+1], s[sgprSrdC+1], 0        // incToNextRow: gra SRD += inc(upper)
_buffer_load_b128 v[12:15], v9, s[sgprSrdC:sgprSrdC+3], 0, offen offset:0 // load C for beta calc
_v_add_lshl_u32 v9, v3, v0, 0x2                    // scaleToBpe: accumulate d0 lower and *= bpe into Cin addr
v_cndmask_b32 v9, -1, v9, s[56:57]                 // LDD clip if OOB. offset
/* (d1,vc1,d0,vc0)=(2,0,1,0) */
_v_add_co_u32 v10, vcc, v0, 8                      // coord0.1: coord0 += d0*sg0*VW + vc0
v_cmp_lt_u32 s[52:53], v10, s[sgprSizeI]           // coord0 < size0
v_cmp_lt_u32 s[56:57], v1, s[sgprSizeJ]            // coord1 < size1
s_and_b64 s[56:57], s[52:53], s[56:57]             // in0 && in1
_v_add_lshl_u32 v20, v2, v10, 0x2                  // scaleToBpe: accumulate d0 lower and *= bpe into Cin addr
v_cndmask_b32 v20, -1, v20, s[56:57]               // LDC clip if OOB. offset
_buffer_load_b128 v[24:27], v20, s[sgprSrdC:sgprSrdC+3], 0, offen offset:0 // load C for beta calc
_v_add_lshl_u32 v20, v3, v10, 0x2                  // scaleToBpe: accumulate d0 lower and *= bpe into Cin addr
v_cndmask_b32 v20, -1, v20, s[56:57]               // LDD clip if OOB. offset
/* (d1,vc1,d0,vc0)=(2,0,2,0) */
_v_add_co_u32 v10, vcc, v0, 16                     // coord0.1: coord0 += d0*sg0*VW + vc0
v_cmp_lt_u32 s[52:53], v10, s[sgprSizeI]           // coord0 < size0
v_cmp_lt_u32 s[56:57], v1, s[sgprSizeJ]            // coord1 < size1
s_and_b64 s[56:57], s[52:53], s[56:57]             // in0 && in1
_v_add_lshl_u32 v21, v2, v10, 0x2                  // scaleToBpe: accumulate d0 lower and *= bpe into Cin addr
v_cndmask_b32 v21, -1, v21, s[56:57]               // LDC clip if OOB. offset
_buffer_load_b128 v[32:35], v21, s[sgprSrdC:sgprSrdC+3], 0, offen offset:0 // load C for beta calc
_v_add_lshl_u32 v21, v3, v10, 0x2                  // scaleToBpe: accumulate d0 lower and *= bpe into Cin addr
v_cndmask_b32 v21, -1, v21, s[56:57]               // LDD clip if OOB. offset
/* (d1,vc1,d0,vc0)=(2,0,3,0) */
_v_add_co_u32 v10, vcc, v0, 24                     // coord0.1: coord0 += d0*sg0*VW + vc0
v_cmp_lt_u32 s[52:53], v10, s[sgprSizeI]           // coord0 < size0
v_cmp_lt_u32 s[56:57], v1, s[sgprSizeJ]            // coord1 < size1
s_and_b64 s[56:57], s[52:53], s[56:57]             // in0 && in1
_v_add_lshl_u32 v22, v2, v10, 0x2                  // scaleToBpe: accumulate d0 lower and *= bpe into Cin addr
v_cndmask_b32 v22, -1, v22, s[56:57]               // LDC clip if OOB. offset
_buffer_load_b128 v[40:43], v22, s[sgprSrdC:sgprSrdC+3], 0, offen offset:0 // load C for beta calc
_v_add_lshl_u32 v22, v3, v10, 0x2                  // scaleToBpe: accumulate d0 lower and *= bpe into Cin addr
v_cndmask_b32 v22, -1, v22, s[56:57]               // LDD clip if OOB. offset
v_accvgpr_read_b32 v[vgprValuC+16], acc32 // copy acc to vreg[32]
v_accvgpr_read_b32 v[vgprValuC+17], acc33 // copy acc to vreg[33]
v_accvgpr_read_b32 v[vgprValuC+18], acc34 // copy acc to vreg[34]
v_accvgpr_read_b32 v[vgprValuC+19], acc35 // copy acc to vreg[35]
v_accvgpr_read_b32 v[vgprValuC+28], acc36 // copy acc to vreg[36]
v_accvgpr_read_b32 v[vgprValuC+29], acc37 // copy acc to vreg[37]
v_accvgpr_read_b32 v[vgprValuC+30], acc38 // copy acc to vreg[38]
v_accvgpr_read_b32 v[vgprValuC+31], acc39 // copy acc to vreg[39]
v_accvgpr_read_b32 v[vgprValuC+36], acc40 // copy acc to vreg[40]
v_accvgpr_read_b32 v[vgprValuC+37], acc41 // copy acc to vreg[41]
v_accvgpr_read_b32 v[vgprValuC+38], acc42 // copy acc to vreg[42]
v_accvgpr_read_b32 v[vgprValuC+39], acc43 // copy acc to vreg[43]
v_accvgpr_read_b32 v[vgprValuC+44], acc44 // copy acc to vreg[44]
v_accvgpr_read_b32 v[vgprValuC+45], acc45 // copy acc to vreg[45]
v_accvgpr_read_b32 v[vgprValuC+46], acc46 // copy acc to vreg[46]
v_accvgpr_read_b32 v[vgprValuC+47], acc47 // copy acc to vreg[47]
s_nop 1                                            // 2 wait states required before reading vgpr

/* rC *= alpha batchElements=[(2, 0, 0, 0), (2, 1, 0, 0), (2, 2, 0, 0), (2, 3, 0, 0)] */
v_mul_lo_u32 v[vgprValuC+16], s[sgprAlpha], v[vgprValuC+16] // *= alpha
v_mul_lo_u32 v[vgprValuC+17], s[sgprAlpha], v[vgprValuC+17] // *= alpha
	;; [unrolled: 1-line block ×16, first 2 shown]
s_waitcnt vmcnt(0)                                 // wait C

/* apply mask, calc new C and issue writes */

/* StoreRemap: shift coord1 address */
s_mul_i32 s52, s[sgprStrideD1J], 128               // scale StrideD *= numRows(32) * bpe
s_add_u32  s[sgprSrdD+0], s[sgprSrdD+0], s52       // incToNextRow: gra SRD += inc(lower)
s_addc_u32  s[sgprSrdD+1], s[sgprSrdD+1], 0        // incToNextRow: gra SRD += inc(upper)
v_mov_b32 v10, 32                                  // set shift rows
_v_add_u32 v5, v5, v10                             // shift storeRemap coord1
v_mul_lo_u32 v12, s[sgprBeta], v12                 // C = C*beta
_v_add_u32 v[vgprValuC+16], v12, v[vgprValuC+16]   // finalSum = sum*alpha + C*beta
v_mul_lo_u32 v13, s[sgprBeta], v13                 // C = C*beta
_v_add_u32 v[vgprValuC+17], v13, v[vgprValuC+17]   // finalSum = sum*alpha + C*beta
	;; [unrolled: 2-line block ×4, first 2 shown]
_ds_store_b128 v7, v[16:19], offset:0              // storeRemap lw
v_mul_lo_u32 v24, s[sgprBeta], v24                 // C = C*beta
_v_add_u32 v[vgprValuC+28], v24, v[vgprValuC+28]   // finalSum = sum*alpha + C*beta
v_mul_lo_u32 v25, s[sgprBeta], v25                 // C = C*beta
_v_add_u32 v[vgprValuC+29], v25, v[vgprValuC+29]   // finalSum = sum*alpha + C*beta
v_mul_lo_u32 v26, s[sgprBeta], v26                 // C = C*beta
_v_add_u32 v[vgprValuC+30], v26, v[vgprValuC+30]   // finalSum = sum*alpha + C*beta
v_mul_lo_u32 v27, s[sgprBeta], v27                 // C = C*beta
_v_add_u32 v[vgprValuC+31], v27, v[vgprValuC+31]   // finalSum = sum*alpha + C*beta
_ds_store_b128 v7, v[28:31], offset:32             // storeRemap lw
v_mul_lo_u32 v32, s[sgprBeta], v32                 // C = C*beta
_v_add_u32 v[vgprValuC+36], v32, v[vgprValuC+36]   // finalSum = sum*alpha + C*beta
v_mul_lo_u32 v33, s[sgprBeta], v33                 // C = C*beta
_v_add_u32 v[vgprValuC+37], v33, v[vgprValuC+37]   // finalSum = sum*alpha + C*beta
v_mul_lo_u32 v34, s[sgprBeta], v34                 // C = C*beta
_v_add_u32 v[vgprValuC+38], v34, v[vgprValuC+38]   // finalSum = sum*alpha + C*beta
v_mul_lo_u32 v35, s[sgprBeta], v35                 // C = C*beta
_v_add_u32 v[vgprValuC+39], v35, v[vgprValuC+39]   // finalSum = sum*alpha + C*beta
_ds_store_b128 v7, v[36:39], offset:64             // storeRemap lw
	;; [unrolled: 9-line block ×3, first 2 shown]

/* Handle local read and global write */
s_waitcnt lgkmcnt(0)                               // wait for LDS write
s_barrier //wait all lds write finished

_ds_load_b128 v[12:15], v8, offset:0               // storeRemap lr
_ds_load_b128 v[16:19], v8, offset:1056            // storeRemap lr
_ds_load_b128 v[20:23], v8, offset:2112            // storeRemap lr
	;; [unrolled: 1-line block ×3, first 2 shown]

s_waitcnt lgkmcnt(3)                               // wait for LDS read
_v_add_u32 v11, v5, 0                              // coord1 += nColPerLoad
_v_add_u32 v10, v4, 0                              // coord0 += element index of load vector
_v_add_u32 v9, v6, 0                               // offset coord1 += nColPerLoad
v_cmp_lt_u32 s[52:53], v10, s[sgprSizeI]           // coord0 < size0
v_cmp_lt_u32 s[54:55], v11, s[sgprSizeJ]           // coord1 < size1
s_and_b64 s[54:55], s[52:53], s[54:55]             // in0 && in1
v_mul_lo_u32 v9, v9, s[sgprStrideD1J]              // coord1 element offset =  coord1 * StrideD
_v_add_lshl_u32 v9, v9, v10, 0x2                   // scale to BPE
v_cndmask_b32 v9, -1, v9, s[54:55]                 // clip if OOB. offset
_buffer_store_b128 v[12:15], v9, s[sgprSrdD:sgprSrdD+3], 0, offen, offset:0 // store D
s_waitcnt lgkmcnt(2)                               // wait for LDS read
_v_add_u32 v11, v5, 2                              // coord1 += nColPerLoad
_v_add_u32 v10, v4, 0                              // coord0 += element index of load vector
_v_add_u32 v9, v6, 2                               // offset coord1 += nColPerLoad
v_cmp_lt_u32 s[52:53], v10, s[sgprSizeI]           // coord0 < size0
v_cmp_lt_u32 s[54:55], v11, s[sgprSizeJ]           // coord1 < size1
s_and_b64 s[54:55], s[52:53], s[54:55]             // in0 && in1
v_mul_lo_u32 v9, v9, s[sgprStrideD1J]              // coord1 element offset =  coord1 * StrideD
_v_add_lshl_u32 v9, v9, v10, 0x2                   // scale to BPE
v_cndmask_b32 v9, -1, v9, s[54:55]                 // clip if OOB. offset
_buffer_store_b128 v[16:19], v9, s[sgprSrdD:sgprSrdD+3], 0, offen, offset:0 // store D
	;; [unrolled: 11-line block ×4, first 2 shown]

s_barrier //wait all lds read finished
s_nop 0                                            // 1 wait state required when next inst writes vgprs held by previous dwordx4 store inst
s_branch label_GW_End_43                           // jump to end
label_GW_End_43:

label_0048:  /// KernelEnd
s_endpgm                                           // Kernel End

